;; amdgpu-corpus repo=ROCm/rocFFT kind=compiled arch=gfx906 opt=O3
	.text
	.amdgcn_target "amdgcn-amd-amdhsa--gfx906"
	.amdhsa_code_object_version 6
	.protected	fft_rtc_fwd_len578_factors_17_17_2_wgs_238_tpt_34_halfLds_sp_op_CI_CI_sbrr_dirReg ; -- Begin function fft_rtc_fwd_len578_factors_17_17_2_wgs_238_tpt_34_halfLds_sp_op_CI_CI_sbrr_dirReg
	.globl	fft_rtc_fwd_len578_factors_17_17_2_wgs_238_tpt_34_halfLds_sp_op_CI_CI_sbrr_dirReg
	.p2align	8
	.type	fft_rtc_fwd_len578_factors_17_17_2_wgs_238_tpt_34_halfLds_sp_op_CI_CI_sbrr_dirReg,@function
fft_rtc_fwd_len578_factors_17_17_2_wgs_238_tpt_34_halfLds_sp_op_CI_CI_sbrr_dirReg: ; @fft_rtc_fwd_len578_factors_17_17_2_wgs_238_tpt_34_halfLds_sp_op_CI_CI_sbrr_dirReg
; %bb.0:
	s_load_dwordx4 s[16:19], s[4:5], 0x18
	s_load_dwordx4 s[8:11], s[4:5], 0x0
	;; [unrolled: 1-line block ×3, first 2 shown]
	v_mul_u32_u24_e32 v1, 0x788, v0
	v_lshrrev_b32_e32 v1, 16, v1
	v_mad_u64_u32 v[31:32], s[0:1], s6, 7, v[1:2]
	s_waitcnt lgkmcnt(0)
	s_load_dwordx2 s[2:3], s[16:17], 0x0
	s_load_dwordx2 s[20:21], s[18:19], 0x0
	v_mov_b32_e32 v1, 0
	v_cmp_lt_u64_e64 s[0:1], s[10:11], 2
	v_mov_b32_e32 v40, 0
	v_mov_b32_e32 v32, v1
	;; [unrolled: 1-line block ×5, first 2 shown]
	s_and_b64 vcc, exec, s[0:1]
	v_mov_b32_e32 v4, v41
	v_mov_b32_e32 v8, v32
	s_cbranch_vccnz .LBB0_8
; %bb.1:
	s_load_dwordx2 s[0:1], s[4:5], 0x10
	s_add_u32 s6, s18, 8
	s_addc_u32 s7, s19, 0
	s_add_u32 s22, s16, 8
	s_addc_u32 s23, s17, 0
	v_mov_b32_e32 v40, 0
	s_waitcnt lgkmcnt(0)
	s_add_u32 s24, s0, 8
	v_mov_b32_e32 v41, 0
	v_mov_b32_e32 v3, v40
	;; [unrolled: 1-line block ×3, first 2 shown]
	s_addc_u32 s25, s1, 0
	s_mov_b64 s[26:27], 1
	v_mov_b32_e32 v4, v41
	v_mov_b32_e32 v6, v32
.LBB0_2:                                ; =>This Inner Loop Header: Depth=1
	s_load_dwordx2 s[28:29], s[24:25], 0x0
                                        ; implicit-def: $vgpr7_vgpr8
	s_waitcnt lgkmcnt(0)
	v_or_b32_e32 v2, s29, v6
	v_cmp_ne_u64_e32 vcc, 0, v[1:2]
	s_and_saveexec_b64 s[0:1], vcc
	s_xor_b64 s[30:31], exec, s[0:1]
	s_cbranch_execz .LBB0_4
; %bb.3:                                ;   in Loop: Header=BB0_2 Depth=1
	v_cvt_f32_u32_e32 v2, s28
	v_cvt_f32_u32_e32 v7, s29
	s_sub_u32 s0, 0, s28
	s_subb_u32 s1, 0, s29
	v_mac_f32_e32 v2, 0x4f800000, v7
	v_rcp_f32_e32 v2, v2
	v_mul_f32_e32 v2, 0x5f7ffffc, v2
	v_mul_f32_e32 v7, 0x2f800000, v2
	v_trunc_f32_e32 v7, v7
	v_mac_f32_e32 v2, 0xcf800000, v7
	v_cvt_u32_f32_e32 v7, v7
	v_cvt_u32_f32_e32 v2, v2
	v_mul_lo_u32 v8, s0, v7
	v_mul_hi_u32 v9, s0, v2
	v_mul_lo_u32 v11, s1, v2
	v_mul_lo_u32 v10, s0, v2
	v_add_u32_e32 v8, v9, v8
	v_add_u32_e32 v8, v8, v11
	v_mul_hi_u32 v9, v2, v10
	v_mul_lo_u32 v11, v2, v8
	v_mul_hi_u32 v13, v2, v8
	v_mul_hi_u32 v12, v7, v10
	v_mul_lo_u32 v10, v7, v10
	v_mul_hi_u32 v14, v7, v8
	v_add_co_u32_e32 v9, vcc, v9, v11
	v_addc_co_u32_e32 v11, vcc, 0, v13, vcc
	v_mul_lo_u32 v8, v7, v8
	v_add_co_u32_e32 v9, vcc, v9, v10
	v_addc_co_u32_e32 v9, vcc, v11, v12, vcc
	v_addc_co_u32_e32 v10, vcc, 0, v14, vcc
	v_add_co_u32_e32 v8, vcc, v9, v8
	v_addc_co_u32_e32 v9, vcc, 0, v10, vcc
	v_add_co_u32_e32 v2, vcc, v2, v8
	v_addc_co_u32_e32 v7, vcc, v7, v9, vcc
	v_mul_lo_u32 v8, s0, v7
	v_mul_hi_u32 v9, s0, v2
	v_mul_lo_u32 v10, s1, v2
	v_mul_lo_u32 v11, s0, v2
	v_add_u32_e32 v8, v9, v8
	v_add_u32_e32 v8, v8, v10
	v_mul_lo_u32 v12, v2, v8
	v_mul_hi_u32 v13, v2, v11
	v_mul_hi_u32 v14, v2, v8
	;; [unrolled: 1-line block ×3, first 2 shown]
	v_mul_lo_u32 v11, v7, v11
	v_mul_hi_u32 v9, v7, v8
	v_add_co_u32_e32 v12, vcc, v13, v12
	v_addc_co_u32_e32 v13, vcc, 0, v14, vcc
	v_mul_lo_u32 v8, v7, v8
	v_add_co_u32_e32 v11, vcc, v12, v11
	v_addc_co_u32_e32 v10, vcc, v13, v10, vcc
	v_addc_co_u32_e32 v9, vcc, 0, v9, vcc
	v_add_co_u32_e32 v8, vcc, v10, v8
	v_addc_co_u32_e32 v9, vcc, 0, v9, vcc
	v_add_co_u32_e32 v2, vcc, v2, v8
	v_addc_co_u32_e32 v9, vcc, v7, v9, vcc
	v_mad_u64_u32 v[7:8], s[0:1], v5, v9, 0
	v_mul_hi_u32 v10, v5, v2
	v_add_co_u32_e32 v11, vcc, v10, v7
	v_addc_co_u32_e32 v12, vcc, 0, v8, vcc
	v_mad_u64_u32 v[7:8], s[0:1], v6, v2, 0
	v_mad_u64_u32 v[9:10], s[0:1], v6, v9, 0
	v_add_co_u32_e32 v2, vcc, v11, v7
	v_addc_co_u32_e32 v2, vcc, v12, v8, vcc
	v_addc_co_u32_e32 v7, vcc, 0, v10, vcc
	v_add_co_u32_e32 v2, vcc, v2, v9
	v_addc_co_u32_e32 v9, vcc, 0, v7, vcc
	v_mul_lo_u32 v10, s29, v2
	v_mul_lo_u32 v11, s28, v9
	v_mad_u64_u32 v[7:8], s[0:1], s28, v2, 0
	v_add3_u32 v8, v8, v11, v10
	v_sub_u32_e32 v10, v6, v8
	v_mov_b32_e32 v11, s29
	v_sub_co_u32_e32 v7, vcc, v5, v7
	v_subb_co_u32_e64 v10, s[0:1], v10, v11, vcc
	v_subrev_co_u32_e64 v11, s[0:1], s28, v7
	v_subbrev_co_u32_e64 v10, s[0:1], 0, v10, s[0:1]
	v_cmp_le_u32_e64 s[0:1], s29, v10
	v_cndmask_b32_e64 v12, 0, -1, s[0:1]
	v_cmp_le_u32_e64 s[0:1], s28, v11
	v_cndmask_b32_e64 v11, 0, -1, s[0:1]
	v_cmp_eq_u32_e64 s[0:1], s29, v10
	v_cndmask_b32_e64 v10, v12, v11, s[0:1]
	v_add_co_u32_e64 v11, s[0:1], 2, v2
	v_addc_co_u32_e64 v12, s[0:1], 0, v9, s[0:1]
	v_add_co_u32_e64 v13, s[0:1], 1, v2
	v_addc_co_u32_e64 v14, s[0:1], 0, v9, s[0:1]
	v_subb_co_u32_e32 v8, vcc, v6, v8, vcc
	v_cmp_ne_u32_e64 s[0:1], 0, v10
	v_cmp_le_u32_e32 vcc, s29, v8
	v_cndmask_b32_e64 v10, v14, v12, s[0:1]
	v_cndmask_b32_e64 v12, 0, -1, vcc
	v_cmp_le_u32_e32 vcc, s28, v7
	v_cndmask_b32_e64 v7, 0, -1, vcc
	v_cmp_eq_u32_e32 vcc, s29, v8
	v_cndmask_b32_e32 v7, v12, v7, vcc
	v_cmp_ne_u32_e32 vcc, 0, v7
	v_cndmask_b32_e64 v7, v13, v11, s[0:1]
	v_cndmask_b32_e32 v8, v9, v10, vcc
	v_cndmask_b32_e32 v7, v2, v7, vcc
.LBB0_4:                                ;   in Loop: Header=BB0_2 Depth=1
	s_andn2_saveexec_b64 s[0:1], s[30:31]
	s_cbranch_execz .LBB0_6
; %bb.5:                                ;   in Loop: Header=BB0_2 Depth=1
	v_cvt_f32_u32_e32 v2, s28
	s_sub_i32 s30, 0, s28
	v_rcp_iflag_f32_e32 v2, v2
	v_mul_f32_e32 v2, 0x4f7ffffe, v2
	v_cvt_u32_f32_e32 v2, v2
	v_mul_lo_u32 v7, s30, v2
	v_mul_hi_u32 v7, v2, v7
	v_add_u32_e32 v2, v2, v7
	v_mul_hi_u32 v2, v5, v2
	v_mul_lo_u32 v7, v2, s28
	v_add_u32_e32 v8, 1, v2
	v_sub_u32_e32 v7, v5, v7
	v_subrev_u32_e32 v9, s28, v7
	v_cmp_le_u32_e32 vcc, s28, v7
	v_cndmask_b32_e32 v7, v7, v9, vcc
	v_cndmask_b32_e32 v2, v2, v8, vcc
	v_add_u32_e32 v8, 1, v2
	v_cmp_le_u32_e32 vcc, s28, v7
	v_cndmask_b32_e32 v7, v2, v8, vcc
	v_mov_b32_e32 v8, v1
.LBB0_6:                                ;   in Loop: Header=BB0_2 Depth=1
	s_or_b64 exec, exec, s[0:1]
	v_mul_lo_u32 v2, v8, s28
	v_mul_lo_u32 v11, v7, s29
	v_mad_u64_u32 v[9:10], s[0:1], v7, s28, 0
	s_load_dwordx2 s[0:1], s[22:23], 0x0
	s_load_dwordx2 s[28:29], s[6:7], 0x0
	v_add3_u32 v2, v10, v11, v2
	v_sub_co_u32_e32 v5, vcc, v5, v9
	v_subb_co_u32_e32 v2, vcc, v6, v2, vcc
	s_waitcnt lgkmcnt(0)
	v_mul_lo_u32 v6, s0, v2
	v_mul_lo_u32 v9, s1, v5
	v_mad_u64_u32 v[40:41], s[0:1], s0, v5, v[40:41]
	s_add_u32 s26, s26, 1
	s_addc_u32 s27, s27, 0
	s_add_u32 s6, s6, 8
	v_mul_lo_u32 v2, s28, v2
	v_mul_lo_u32 v10, s29, v5
	v_mad_u64_u32 v[3:4], s[0:1], s28, v5, v[3:4]
	v_add3_u32 v41, v9, v41, v6
	s_addc_u32 s7, s7, 0
	v_mov_b32_e32 v5, s10
	s_add_u32 s22, s22, 8
	v_mov_b32_e32 v6, s11
	s_addc_u32 s23, s23, 0
	v_cmp_ge_u64_e32 vcc, s[26:27], v[5:6]
	s_add_u32 s24, s24, 8
	v_add3_u32 v4, v10, v4, v2
	s_addc_u32 s25, s25, 0
	s_cbranch_vccnz .LBB0_8
; %bb.7:                                ;   in Loop: Header=BB0_2 Depth=1
	v_mov_b32_e32 v5, v7
	v_mov_b32_e32 v6, v8
	s_branch .LBB0_2
.LBB0_8:
	s_load_dwordx2 s[0:1], s[4:5], 0x28
	s_lshl_b64 s[10:11], s[10:11], 3
	s_add_u32 s4, s18, s10
	s_addc_u32 s5, s19, s11
                                        ; implicit-def: $sgpr18_sgpr19
                                        ; implicit-def: $vgpr1
                                        ; implicit-def: $vgpr9
                                        ; implicit-def: $vgpr10
                                        ; implicit-def: $vgpr11
                                        ; implicit-def: $vgpr12
                                        ; implicit-def: $vgpr13
                                        ; implicit-def: $vgpr14
                                        ; implicit-def: $vgpr5
                                        ; implicit-def: $vgpr2
	s_waitcnt lgkmcnt(0)
	v_cmp_gt_u64_e32 vcc, s[0:1], v[7:8]
	v_cmp_le_u64_e64 s[0:1], s[0:1], v[7:8]
	s_and_saveexec_b64 s[6:7], s[0:1]
	s_xor_b64 s[0:1], exec, s[6:7]
	s_cbranch_execz .LBB0_10
; %bb.9:
	s_mov_b32 s6, 0x7878788
	v_mul_hi_u32 v1, v0, s6
	s_mov_b64 s[18:19], 0
                                        ; implicit-def: $vgpr40_vgpr41
	v_mul_u32_u24_e32 v1, 34, v1
	v_sub_u32_e32 v1, v0, v1
	v_add_u32_e32 v9, 34, v1
	v_add_u32_e32 v10, 0x44, v1
	;; [unrolled: 1-line block ×8, first 2 shown]
                                        ; implicit-def: $vgpr0
.LBB0_10:
	s_or_saveexec_b64 s[6:7], s[0:1]
	v_mov_b32_e32 v46, s19
	v_mov_b32_e32 v45, s18
                                        ; implicit-def: $vgpr48
                                        ; implicit-def: $vgpr42
                                        ; implicit-def: $vgpr37
                                        ; implicit-def: $vgpr33
                                        ; implicit-def: $vgpr28
                                        ; implicit-def: $vgpr24
                                        ; implicit-def: $vgpr20
                                        ; implicit-def: $vgpr16
                                        ; implicit-def: $vgpr22
                                        ; implicit-def: $vgpr30
                                        ; implicit-def: $vgpr39
                                        ; implicit-def: $vgpr50
                                        ; implicit-def: $vgpr44
                                        ; implicit-def: $vgpr35
                                        ; implicit-def: $vgpr26
                                        ; implicit-def: $vgpr18
	s_xor_b64 exec, exec, s[6:7]
	s_cbranch_execz .LBB0_12
; %bb.11:
	s_add_u32 s0, s16, s10
	s_mov_b32 s10, 0x7878788
	s_addc_u32 s1, s17, s11
	v_mul_hi_u32 v1, v0, s10
	s_load_dwordx2 s[0:1], s[0:1], 0x0
	v_mul_u32_u24_e32 v1, 34, v1
	v_sub_u32_e32 v1, v0, v1
	s_waitcnt lgkmcnt(0)
	v_mul_lo_u32 v2, s1, v7
	v_mad_u64_u32 v[5:6], s[10:11], s2, v1, 0
	v_mul_lo_u32 v13, s0, v8
	v_mad_u64_u32 v[9:10], s[0:1], s0, v7, 0
	v_mov_b32_e32 v0, v6
	v_mad_u64_u32 v[11:12], s[0:1], s3, v1, v[0:1]
	v_add3_u32 v10, v10, v13, v2
	v_lshlrev_b64 v[9:10], 3, v[9:10]
	v_mov_b32_e32 v0, s13
	v_add_co_u32_e64 v2, s[0:1], s12, v9
	v_add_u32_e32 v9, 34, v1
	v_addc_co_u32_e64 v0, s[0:1], v0, v10, s[0:1]
	v_mad_u64_u32 v[12:13], s[0:1], s2, v9, 0
	v_mov_b32_e32 v6, v11
	v_lshlrev_b64 v[10:11], 3, v[40:41]
	v_lshlrev_b64 v[5:6], 3, v[5:6]
	v_add_co_u32_e64 v22, s[0:1], v2, v10
	v_addc_co_u32_e64 v23, s[0:1], v0, v11, s[0:1]
	v_mov_b32_e32 v0, v13
	v_mad_u64_u32 v[13:14], s[0:1], s3, v9, v[0:1]
	v_add_u32_e32 v10, 0x44, v1
	v_mad_u64_u32 v[14:15], s[0:1], s2, v10, 0
	v_add_co_u32_e64 v43, s[0:1], v22, v5
	v_mov_b32_e32 v0, v15
	v_add_u32_e32 v11, 0x66, v1
	v_addc_co_u32_e64 v44, s[0:1], v23, v6, s[0:1]
	v_lshlrev_b64 v[5:6], 3, v[12:13]
	v_mad_u64_u32 v[12:13], s[0:1], s3, v10, v[0:1]
	v_mad_u64_u32 v[16:17], s[0:1], s2, v11, 0
	v_add_co_u32_e64 v49, s[0:1], v22, v5
	v_mov_b32_e32 v15, v12
	v_mov_b32_e32 v0, v17
	v_addc_co_u32_e64 v50, s[0:1], v23, v6, s[0:1]
	v_lshlrev_b64 v[5:6], 3, v[14:15]
	v_mad_u64_u32 v[13:14], s[0:1], s3, v11, v[0:1]
	v_add_u32_e32 v12, 0x88, v1
	v_mad_u64_u32 v[14:15], s[0:1], s2, v12, 0
	v_add_co_u32_e64 v51, s[0:1], v22, v5
	v_mov_b32_e32 v17, v13
	v_mov_b32_e32 v0, v15
	v_addc_co_u32_e64 v52, s[0:1], v23, v6, s[0:1]
	v_lshlrev_b64 v[5:6], 3, v[16:17]
	v_mad_u64_u32 v[15:16], s[0:1], s3, v12, v[0:1]
	v_add_u32_e32 v13, 0xaa, v1
	v_mad_u64_u32 v[16:17], s[0:1], s2, v13, 0
	v_add_co_u32_e64 v53, s[0:1], v22, v5
	v_mov_b32_e32 v0, v17
	v_addc_co_u32_e64 v54, s[0:1], v23, v6, s[0:1]
	v_lshlrev_b64 v[5:6], 3, v[14:15]
	v_mad_u64_u32 v[17:18], s[0:1], s3, v13, v[0:1]
	v_add_u32_e32 v14, 0xcc, v1
	v_mad_u64_u32 v[18:19], s[0:1], s2, v14, 0
	v_add_co_u32_e64 v55, s[0:1], v22, v5
	v_mov_b32_e32 v0, v19
	v_addc_co_u32_e64 v56, s[0:1], v23, v6, s[0:1]
	v_mad_u64_u32 v[19:20], s[0:1], s3, v14, v[0:1]
	v_add_u32_e32 v5, 0xee, v1
	v_mad_u64_u32 v[20:21], s[0:1], s2, v5, 0
	v_lshlrev_b64 v[15:16], 3, v[16:17]
	v_add_u32_e32 v2, 0x110, v1
	v_add_co_u32_e64 v57, s[0:1], v22, v15
	v_mov_b32_e32 v0, v21
	v_addc_co_u32_e64 v58, s[0:1], v23, v16, s[0:1]
	v_lshlrev_b64 v[15:16], 3, v[18:19]
	v_mad_u64_u32 v[17:18], s[0:1], s3, v5, v[0:1]
	v_mad_u64_u32 v[18:19], s[0:1], s2, v2, 0
	v_add_co_u32_e64 v59, s[0:1], v22, v15
	v_mov_b32_e32 v21, v17
	v_mov_b32_e32 v0, v19
	v_addc_co_u32_e64 v60, s[0:1], v23, v16, s[0:1]
	v_lshlrev_b64 v[15:16], 3, v[20:21]
	v_mad_u64_u32 v[19:20], s[0:1], s3, v2, v[0:1]
	v_add_u32_e32 v6, 0x132, v1
	v_mad_u64_u32 v[20:21], s[0:1], s2, v6, 0
	v_add_co_u32_e64 v61, s[0:1], v22, v15
	v_mov_b32_e32 v0, v21
	v_addc_co_u32_e64 v62, s[0:1], v23, v16, s[0:1]
	v_lshlrev_b64 v[15:16], 3, v[18:19]
	v_mad_u64_u32 v[17:18], s[0:1], s3, v6, v[0:1]
	v_add_u32_e32 v6, 0x154, v1
	v_mad_u64_u32 v[18:19], s[0:1], s2, v6, 0
	v_add_co_u32_e64 v63, s[0:1], v22, v15
	v_mov_b32_e32 v21, v17
	v_mov_b32_e32 v0, v19
	v_addc_co_u32_e64 v64, s[0:1], v23, v16, s[0:1]
	v_lshlrev_b64 v[15:16], 3, v[20:21]
	v_mad_u64_u32 v[19:20], s[0:1], s3, v6, v[0:1]
	v_add_u32_e32 v6, 0x176, v1
	v_mad_u64_u32 v[20:21], s[0:1], s2, v6, 0
	v_add_co_u32_e64 v65, s[0:1], v22, v15
	v_mov_b32_e32 v0, v21
	v_addc_co_u32_e64 v66, s[0:1], v23, v16, s[0:1]
	v_lshlrev_b64 v[15:16], 3, v[18:19]
	v_mad_u64_u32 v[17:18], s[0:1], s3, v6, v[0:1]
	v_add_u32_e32 v6, 0x198, v1
	;; [unrolled: 15-line block ×4, first 2 shown]
	v_mad_u64_u32 v[18:19], s[0:1], s2, v6, 0
	v_add_co_u32_e64 v75, s[0:1], v22, v15
	v_mov_b32_e32 v21, v17
	v_mov_b32_e32 v0, v19
	v_addc_co_u32_e64 v76, s[0:1], v23, v16, s[0:1]
	v_lshlrev_b64 v[15:16], 3, v[20:21]
	v_mad_u64_u32 v[19:20], s[0:1], s3, v6, v[0:1]
	v_add_co_u32_e64 v77, s[0:1], v22, v15
	v_addc_co_u32_e64 v78, s[0:1], v23, v16, s[0:1]
	v_lshlrev_b64 v[15:16], 3, v[18:19]
	v_add_co_u32_e64 v79, s[0:1], v22, v15
	v_addc_co_u32_e64 v80, s[0:1], v23, v16, s[0:1]
	global_load_dwordx2 v[45:46], v[43:44], off
	global_load_dwordx2 v[47:48], v[49:50], off
	;; [unrolled: 1-line block ×15, first 2 shown]
                                        ; kill: killed $vgpr73 killed $vgpr74
                                        ; kill: killed $vgpr51 killed $vgpr52
                                        ; kill: killed $vgpr63 killed $vgpr64
                                        ; kill: killed $vgpr53 killed $vgpr54
                                        ; kill: killed $vgpr67 killed $vgpr68
                                        ; kill: killed $vgpr55 killed $vgpr56
                                        ; kill: killed $vgpr71 killed $vgpr72
                                        ; kill: killed $vgpr43 killed $vgpr44
                                        ; kill: killed $vgpr57 killed $vgpr58
                                        ; kill: killed $vgpr75 killed $vgpr76
                                        ; kill: killed $vgpr65 killed $vgpr66
                                        ; kill: killed $vgpr59 killed $vgpr60
                                        ; kill: killed $vgpr69 killed $vgpr70
                                        ; kill: killed $vgpr49 killed $vgpr50
                                        ; kill: killed $vgpr61 killed $vgpr62
	global_load_dwordx2 v[43:44], v[77:78], off
	global_load_dwordx2 v[49:50], v[79:80], off
.LBB0_12:
	s_or_b64 exec, exec, s[6:7]
	s_mov_b32 s0, 0x24924925
	v_mul_hi_u32 v0, v31, s0
	s_waitcnt vmcnt(15)
	v_add_f32_e32 v40, v48, v46
	v_add_f32_e32 v6, v47, v45
	s_waitcnt vmcnt(14)
	v_add_f32_e32 v40, v42, v40
	v_sub_u32_e32 v51, v31, v0
	v_lshrrev_b32_e32 v51, 1, v51
	v_add_u32_e32 v0, v51, v0
	v_lshrrev_b32_e32 v0, 2, v0
	v_mul_lo_u32 v0, v0, 7
	v_add_f32_e32 v6, v41, v6
	s_waitcnt vmcnt(13)
	v_add_f32_e32 v6, v36, v6
	s_waitcnt vmcnt(12)
	v_add_f32_e32 v6, v32, v6
	v_sub_u32_e32 v0, v31, v0
	v_add_f32_e32 v31, v37, v40
	v_add_f32_e32 v31, v33, v31
	s_waitcnt vmcnt(11)
	v_add_f32_e32 v31, v28, v31
	v_add_f32_e32 v6, v27, v6
	s_waitcnt vmcnt(10)
	;; [unrolled: 3-line block ×12, first 2 shown]
	v_add_f32_e32 v40, v50, v31
	v_add_f32_e32 v31, v47, v49
	;; [unrolled: 1-line block ×3, first 2 shown]
	v_sub_f32_e32 v47, v47, v49
	v_mul_f32_e32 v49, 0x3f6eb680, v31
	v_mul_f32_e32 v54, 0x3f3d2fb0, v31
	;; [unrolled: 1-line block ×8, first 2 shown]
	v_add_f32_e32 v51, v48, v50
	v_sub_f32_e32 v48, v48, v50
	v_mov_b32_e32 v50, v49
	v_mul_f32_e32 v52, 0xbeb8f4ab, v47
	v_mov_b32_e32 v55, v54
	v_mul_f32_e32 v56, 0xbf2c7751, v47
	;; [unrolled: 2-line block ×8, first 2 shown]
	s_mov_b32 s6, 0x3f6eb680
	v_fmac_f32_e32 v50, 0x3eb8f4ab, v48
	v_mov_b32_e32 v53, v52
	v_fmac_f32_e32 v49, 0xbeb8f4ab, v48
	s_mov_b32 s7, 0x3f3d2fb0
	v_fmac_f32_e32 v55, 0x3f2c7751, v48
	v_mov_b32_e32 v57, v56
	v_fmac_f32_e32 v54, 0xbf2c7751, v48
	;; [unrolled: 4-line block ×8, first 2 shown]
	v_add_f32_e32 v50, v50, v45
	v_fmac_f32_e32 v53, 0x3f6eb680, v51
	v_add_f32_e32 v49, v49, v45
	v_fma_f32 v52, v51, s6, -v52
	v_add_f32_e32 v55, v55, v45
	v_fmac_f32_e32 v57, 0x3f3d2fb0, v51
	v_add_f32_e32 v54, v54, v45
	v_fma_f32 v56, v51, s7, -v56
	;; [unrolled: 4-line block ×8, first 2 shown]
	v_add_f32_e32 v53, v53, v46
	v_add_f32_e32 v52, v52, v46
	;; [unrolled: 1-line block ×18, first 2 shown]
	v_sub_f32_e32 v41, v41, v43
	v_sub_f32_e32 v42, v42, v44
	v_mul_f32_e32 v43, 0x3f3d2fb0, v46
	v_mov_b32_e32 v44, v43
	v_fmac_f32_e32 v43, 0xbf2c7751, v42
	v_add_f32_e32 v43, v43, v49
	v_mul_f32_e32 v49, 0x3dbcf732, v46
	v_fmac_f32_e32 v44, 0x3f2c7751, v42
	v_mul_f32_e32 v48, 0xbf2c7751, v41
	v_mov_b32_e32 v51, v49
	v_fmac_f32_e32 v49, 0xbf7ee86f, v42
	v_add_f32_e32 v44, v44, v50
	v_mov_b32_e32 v50, v48
	v_fma_f32 v48, v47, s7, -v48
	v_fmac_f32_e32 v51, 0x3f7ee86f, v42
	v_add_f32_e32 v49, v49, v54
	v_mul_f32_e32 v54, 0xbf1a4643, v46
	v_fmac_f32_e32 v50, 0x3f3d2fb0, v47
	v_add_f32_e32 v48, v48, v52
	v_add_f32_e32 v51, v51, v55
	v_mul_f32_e32 v52, 0xbf7ee86f, v41
	v_mov_b32_e32 v55, v54
	v_fmac_f32_e32 v54, 0xbf4c4adb, v42
	v_add_f32_e32 v50, v50, v53
	v_mov_b32_e32 v53, v52
	v_fma_f32 v52, v47, s11, -v52
	v_fmac_f32_e32 v55, 0x3f4c4adb, v42
	v_add_f32_e32 v54, v54, v58
	v_mul_f32_e32 v58, 0xbf7ba420, v46
	v_fmac_f32_e32 v53, 0x3dbcf732, v47
	v_add_f32_e32 v52, v52, v56
	v_add_f32_e32 v55, v55, v59
	;; [unrolled: 12-line block ×5, first 2 shown]
	v_mul_f32_e32 v68, 0x3f763a35, v41
	v_mov_b32_e32 v71, v70
	v_fmac_f32_e32 v70, 0x3f65296c, v42
	v_mul_f32_e32 v46, 0x3f6eb680, v46
	v_add_f32_e32 v65, v65, v69
	v_mov_b32_e32 v69, v68
	v_fma_f32 v68, v47, s12, -v68
	v_add_f32_e32 v70, v70, v74
	v_mov_b32_e32 v74, v46
	v_add_f32_e32 v68, v68, v72
	v_fmac_f32_e32 v71, 0xbf65296c, v42
	v_mul_f32_e32 v72, 0x3f65296c, v41
	v_fmac_f32_e32 v74, 0xbeb8f4ab, v42
	v_mul_f32_e32 v41, 0x3eb8f4ab, v41
	v_fmac_f32_e32 v46, 0x3eb8f4ab, v42
	v_add_f32_e32 v42, v36, v38
	v_add_f32_e32 v71, v71, v75
	v_mov_b32_e32 v75, v41
	v_fma_f32 v41, v47, s6, -v41
	v_sub_f32_e32 v36, v36, v38
	v_mul_f32_e32 v38, 0x3ee437d1, v42
	v_add_f32_e32 v41, v41, v45
	v_add_f32_e32 v45, v37, v39
	v_sub_f32_e32 v37, v37, v39
	v_mov_b32_e32 v39, v38
	v_fmac_f32_e32 v39, 0x3f65296c, v37
	v_fmac_f32_e32 v69, 0xbe8c1d8e, v47
	v_add_f32_e32 v39, v39, v44
	v_mul_f32_e32 v44, 0xbf65296c, v36
	v_fmac_f32_e32 v38, 0xbf65296c, v37
	v_add_f32_e32 v69, v69, v73
	v_mov_b32_e32 v73, v72
	v_add_f32_e32 v31, v46, v31
	v_mov_b32_e32 v46, v44
	v_add_f32_e32 v38, v38, v43
	v_fma_f32 v43, v45, s10, -v44
	v_mul_f32_e32 v44, 0xbf1a4643, v42
	v_fmac_f32_e32 v73, 0x3ee437d1, v47
	v_fma_f32 v72, v47, s10, -v72
	v_fmac_f32_e32 v75, 0x3f6eb680, v47
	v_mov_b32_e32 v47, v44
	v_fmac_f32_e32 v44, 0xbf4c4adb, v37
	v_fmac_f32_e32 v47, 0x3f4c4adb, v37
	v_add_f32_e32 v44, v44, v49
	v_mul_f32_e32 v49, 0xbf7ba420, v42
	v_fmac_f32_e32 v46, 0x3ee437d1, v45
	v_add_f32_e32 v43, v43, v48
	v_add_f32_e32 v47, v47, v51
	v_mul_f32_e32 v48, 0xbf4c4adb, v36
	v_mov_b32_e32 v51, v49
	v_fmac_f32_e32 v49, 0x3e3c28d5, v37
	v_add_f32_e32 v46, v46, v50
	v_mov_b32_e32 v50, v48
	v_fma_f32 v48, v45, s13, -v48
	v_fmac_f32_e32 v51, 0xbe3c28d5, v37
	v_add_f32_e32 v49, v49, v54
	v_mul_f32_e32 v54, 0xbe8c1d8e, v42
	v_fmac_f32_e32 v50, 0xbf1a4643, v45
	v_add_f32_e32 v48, v48, v52
	v_add_f32_e32 v51, v51, v55
	v_mul_f32_e32 v52, 0x3e3c28d5, v36
	v_mov_b32_e32 v55, v54
	v_fmac_f32_e32 v54, 0x3f763a35, v37
	v_add_f32_e32 v50, v50, v53
	v_mov_b32_e32 v53, v52
	v_fma_f32 v52, v45, s17, -v52
	;; [unrolled: 12-line block ×4, first 2 shown]
	v_fmac_f32_e32 v63, 0x3eb8f4ab, v37
	v_add_f32_e32 v62, v62, v66
	v_mul_f32_e32 v66, 0x3dbcf732, v42
	v_fmac_f32_e32 v61, 0x3f3d2fb0, v45
	v_add_f32_e32 v60, v60, v64
	v_add_f32_e32 v63, v63, v67
	v_mul_f32_e32 v64, 0xbeb8f4ab, v36
	v_mov_b32_e32 v67, v66
	v_fmac_f32_e32 v66, 0xbf7ee86f, v37
	v_mul_f32_e32 v42, 0xbf59a7d5, v42
	v_add_f32_e32 v61, v61, v65
	v_mov_b32_e32 v65, v64
	v_fma_f32 v64, v45, s6, -v64
	v_add_f32_e32 v66, v66, v70
	v_mov_b32_e32 v70, v42
	v_add_f32_e32 v64, v64, v68
	v_fmac_f32_e32 v67, 0x3f7ee86f, v37
	v_mul_f32_e32 v68, 0xbf7ee86f, v36
	v_fmac_f32_e32 v70, 0x3f06c442, v37
	v_mul_f32_e32 v36, 0xbf06c442, v36
	v_fmac_f32_e32 v42, 0xbf06c442, v37
	v_add_f32_e32 v37, v32, v34
	v_add_f32_e32 v67, v67, v71
	v_mov_b32_e32 v71, v36
	v_fma_f32 v36, v45, s16, -v36
	v_sub_f32_e32 v32, v32, v34
	v_mul_f32_e32 v34, 0x3dbcf732, v37
	v_add_f32_e32 v36, v36, v41
	v_add_f32_e32 v41, v33, v35
	v_sub_f32_e32 v33, v33, v35
	v_mov_b32_e32 v35, v34
	v_fmac_f32_e32 v35, 0x3f7ee86f, v33
	v_fmac_f32_e32 v65, 0x3f6eb680, v45
	v_add_f32_e32 v35, v35, v39
	v_mul_f32_e32 v39, 0xbf7ee86f, v32
	v_fmac_f32_e32 v34, 0xbf7ee86f, v33
	v_add_f32_e32 v65, v65, v69
	v_mov_b32_e32 v69, v68
	v_add_f32_e32 v31, v42, v31
	v_mov_b32_e32 v42, v39
	v_add_f32_e32 v34, v34, v38
	v_fma_f32 v38, v41, s11, -v39
	v_mul_f32_e32 v39, 0xbf7ba420, v37
	v_fmac_f32_e32 v69, 0x3dbcf732, v45
	v_fma_f32 v68, v45, s11, -v68
	v_fmac_f32_e32 v71, 0xbf59a7d5, v45
	v_fmac_f32_e32 v42, 0x3dbcf732, v41
	v_add_f32_e32 v38, v38, v43
	v_mov_b32_e32 v43, v39
	v_mul_f32_e32 v45, 0xbe3c28d5, v32
	v_fmac_f32_e32 v39, 0xbe3c28d5, v33
	v_add_f32_e32 v42, v42, v46
	v_fmac_f32_e32 v43, 0x3e3c28d5, v33
	v_mov_b32_e32 v46, v45
	v_add_f32_e32 v39, v39, v44
	v_fma_f32 v44, v41, s17, -v45
	v_mul_f32_e32 v45, 0xbe8c1d8e, v37
	v_add_f32_e32 v43, v43, v47
	v_mov_b32_e32 v47, v45
	v_fmac_f32_e32 v45, 0x3f763a35, v33
	v_fmac_f32_e32 v47, 0xbf763a35, v33
	v_add_f32_e32 v45, v45, v49
	v_mul_f32_e32 v49, 0x3f6eb680, v37
	v_fmac_f32_e32 v46, 0xbf7ba420, v41
	v_add_f32_e32 v44, v44, v48
	v_add_f32_e32 v47, v47, v51
	v_mul_f32_e32 v48, 0x3f763a35, v32
	v_mov_b32_e32 v51, v49
	v_fmac_f32_e32 v49, 0x3eb8f4ab, v33
	v_add_f32_e32 v46, v46, v50
	v_mov_b32_e32 v50, v48
	v_fma_f32 v48, v41, s12, -v48
	v_fmac_f32_e32 v51, 0xbeb8f4ab, v33
	v_add_f32_e32 v49, v49, v54
	v_mul_f32_e32 v54, 0x3ee437d1, v37
	v_fmac_f32_e32 v50, 0xbe8c1d8e, v41
	v_add_f32_e32 v48, v48, v52
	v_add_f32_e32 v51, v51, v55
	v_mul_f32_e32 v52, 0x3eb8f4ab, v32
	v_mov_b32_e32 v55, v54
	v_fmac_f32_e32 v54, 0xbf65296c, v33
	v_add_f32_e32 v50, v50, v53
	v_mov_b32_e32 v53, v52
	v_fma_f32 v52, v41, s6, -v52
	;; [unrolled: 12-line block ×3, first 2 shown]
	v_fmac_f32_e32 v59, 0x3f06c442, v33
	v_add_f32_e32 v58, v58, v62
	v_mul_f32_e32 v62, 0xbf1a4643, v37
	v_fmac_f32_e32 v57, 0x3ee437d1, v41
	v_add_f32_e32 v56, v56, v60
	v_add_f32_e32 v59, v59, v63
	v_mul_f32_e32 v60, 0xbf06c442, v32
	v_mov_b32_e32 v63, v62
	v_fmac_f32_e32 v62, 0x3f4c4adb, v33
	v_mul_f32_e32 v37, 0x3f3d2fb0, v37
	v_add_f32_e32 v57, v57, v61
	v_mov_b32_e32 v61, v60
	v_fma_f32 v60, v41, s16, -v60
	v_add_f32_e32 v62, v62, v66
	v_mov_b32_e32 v66, v37
	v_add_f32_e32 v60, v60, v64
	v_fmac_f32_e32 v63, 0xbf4c4adb, v33
	v_mul_f32_e32 v64, 0x3f4c4adb, v32
	v_fmac_f32_e32 v66, 0xbf2c7751, v33
	v_mul_f32_e32 v32, 0x3f2c7751, v32
	v_fmac_f32_e32 v37, 0x3f2c7751, v33
	v_add_f32_e32 v33, v27, v29
	v_add_f32_e32 v63, v63, v67
	v_mov_b32_e32 v67, v32
	v_fma_f32 v32, v41, s7, -v32
	v_sub_f32_e32 v27, v27, v29
	v_mul_f32_e32 v29, 0xbe8c1d8e, v33
	v_add_f32_e32 v32, v32, v36
	v_add_f32_e32 v36, v28, v30
	v_sub_f32_e32 v28, v28, v30
	v_mov_b32_e32 v30, v29
	v_fmac_f32_e32 v30, 0x3f763a35, v28
	v_fmac_f32_e32 v61, 0xbf59a7d5, v41
	v_add_f32_e32 v30, v30, v35
	v_mul_f32_e32 v35, 0xbf763a35, v27
	v_fmac_f32_e32 v29, 0xbf763a35, v28
	v_add_f32_e32 v61, v61, v65
	v_mov_b32_e32 v65, v64
	v_add_f32_e32 v31, v37, v31
	v_mov_b32_e32 v37, v35
	v_add_f32_e32 v29, v29, v34
	v_fma_f32 v34, v36, s12, -v35
	v_mul_f32_e32 v35, 0xbf59a7d5, v33
	v_fmac_f32_e32 v65, 0xbf1a4643, v41
	v_fma_f32 v64, v41, s13, -v64
	v_fmac_f32_e32 v67, 0x3f3d2fb0, v41
	v_fmac_f32_e32 v37, 0xbe8c1d8e, v36
	v_add_f32_e32 v34, v34, v38
	v_mov_b32_e32 v38, v35
	v_mul_f32_e32 v41, 0x3f06c442, v27
	v_fmac_f32_e32 v35, 0x3f06c442, v28
	v_add_f32_e32 v37, v37, v42
	v_fmac_f32_e32 v38, 0xbf06c442, v28
	v_mov_b32_e32 v42, v41
	v_add_f32_e32 v35, v35, v39
	v_fma_f32 v39, v36, s16, -v41
	v_mul_f32_e32 v41, 0x3f3d2fb0, v33
	v_add_f32_e32 v38, v38, v43
	v_mov_b32_e32 v43, v41
	v_fmac_f32_e32 v41, 0x3f2c7751, v28
	v_fmac_f32_e32 v43, 0xbf2c7751, v28
	v_add_f32_e32 v41, v41, v45
	v_mul_f32_e32 v45, 0x3ee437d1, v33
	v_fmac_f32_e32 v42, 0xbf59a7d5, v36
	v_add_f32_e32 v39, v39, v44
	v_add_f32_e32 v43, v43, v47
	v_mul_f32_e32 v44, 0x3f2c7751, v27
	v_mov_b32_e32 v47, v45
	v_fmac_f32_e32 v45, 0xbf65296c, v28
	v_add_f32_e32 v42, v42, v46
	v_mov_b32_e32 v46, v44
	v_fma_f32 v44, v36, s7, -v44
	v_fmac_f32_e32 v47, 0x3f65296c, v28
	v_add_f32_e32 v45, v45, v49
	v_mul_f32_e32 v49, 0xbf7ba420, v33
	v_fmac_f32_e32 v46, 0x3f3d2fb0, v36
	v_add_f32_e32 v44, v44, v48
	v_add_f32_e32 v47, v47, v51
	v_mul_f32_e32 v48, 0xbf65296c, v27
	v_mov_b32_e32 v51, v49
	v_fmac_f32_e32 v49, 0xbe3c28d5, v28
	v_add_f32_e32 v46, v46, v50
	v_mov_b32_e32 v50, v48
	v_fma_f32 v48, v36, s10, -v48
	;; [unrolled: 12-line block ×3, first 2 shown]
	v_fmac_f32_e32 v55, 0xbf7ee86f, v28
	v_add_f32_e32 v54, v54, v58
	v_mul_f32_e32 v58, 0x3f6eb680, v33
	v_fmac_f32_e32 v53, 0xbf7ba420, v36
	v_add_f32_e32 v52, v52, v56
	v_add_f32_e32 v55, v55, v59
	v_mul_f32_e32 v56, 0x3f7ee86f, v27
	v_mov_b32_e32 v59, v58
	v_fmac_f32_e32 v58, 0xbeb8f4ab, v28
	v_mul_f32_e32 v33, 0xbf1a4643, v33
	v_add_f32_e32 v53, v53, v57
	v_mov_b32_e32 v57, v56
	v_fma_f32 v56, v36, s11, -v56
	v_add_f32_e32 v58, v58, v62
	v_mov_b32_e32 v62, v33
	v_fmac_f32_e32 v33, 0xbf4c4adb, v28
	v_add_f32_e32 v56, v56, v60
	v_fmac_f32_e32 v59, 0x3eb8f4ab, v28
	v_mul_f32_e32 v60, 0xbeb8f4ab, v27
	v_fmac_f32_e32 v62, 0x3f4c4adb, v28
	v_mul_f32_e32 v27, 0xbf4c4adb, v27
	v_add_f32_e32 v28, v33, v31
	v_add_f32_e32 v31, v23, v25
	;; [unrolled: 1-line block ×3, first 2 shown]
	v_mov_b32_e32 v63, v27
	v_fma_f32 v27, v36, s13, -v27
	v_sub_f32_e32 v23, v23, v25
	v_mul_f32_e32 v25, 0xbf1a4643, v31
	v_add_f32_e32 v27, v27, v32
	v_add_f32_e32 v32, v24, v26
	v_sub_f32_e32 v24, v24, v26
	v_mov_b32_e32 v26, v25
	v_fmac_f32_e32 v26, 0x3f4c4adb, v24
	v_fmac_f32_e32 v57, 0x3dbcf732, v36
	v_add_f32_e32 v26, v26, v30
	v_mul_f32_e32 v30, 0xbf4c4adb, v23
	v_fmac_f32_e32 v25, 0xbf4c4adb, v24
	v_add_f32_e32 v57, v57, v61
	v_mov_b32_e32 v61, v60
	v_mov_b32_e32 v33, v30
	v_add_f32_e32 v25, v25, v29
	v_fma_f32 v29, v32, s13, -v30
	v_mul_f32_e32 v30, 0xbe8c1d8e, v31
	v_fmac_f32_e32 v61, 0x3f6eb680, v36
	v_fma_f32 v60, v36, s6, -v60
	v_fmac_f32_e32 v63, 0xbf1a4643, v36
	v_fmac_f32_e32 v33, 0xbf1a4643, v32
	v_add_f32_e32 v29, v29, v34
	v_mov_b32_e32 v34, v30
	v_mul_f32_e32 v36, 0x3f763a35, v23
	v_fmac_f32_e32 v30, 0x3f763a35, v24
	v_add_f32_e32 v33, v33, v37
	v_fmac_f32_e32 v34, 0xbf763a35, v24
	v_mov_b32_e32 v37, v36
	v_add_f32_e32 v30, v30, v35
	v_fma_f32 v35, v32, s12, -v36
	v_mul_f32_e32 v36, 0x3f6eb680, v31
	v_add_f32_e32 v34, v34, v38
	v_mov_b32_e32 v38, v36
	v_fmac_f32_e32 v36, 0xbeb8f4ab, v24
	v_fmac_f32_e32 v37, 0xbe8c1d8e, v32
	v_add_f32_e32 v35, v35, v39
	v_fmac_f32_e32 v38, 0x3eb8f4ab, v24
	v_mul_f32_e32 v39, 0xbeb8f4ab, v23
	v_add_f32_e32 v36, v36, v41
	v_mul_f32_e32 v41, 0xbf59a7d5, v31
	v_add_f32_e32 v37, v37, v42
	v_add_f32_e32 v38, v38, v43
	v_mov_b32_e32 v42, v39
	v_fma_f32 v39, v32, s6, -v39
	v_mov_b32_e32 v43, v41
	v_fmac_f32_e32 v41, 0xbf06c442, v24
	v_fmac_f32_e32 v42, 0x3f6eb680, v32
	v_add_f32_e32 v39, v39, v44
	v_fmac_f32_e32 v43, 0x3f06c442, v24
	v_mul_f32_e32 v44, 0xbf06c442, v23
	v_add_f32_e32 v41, v41, v45
	v_mul_f32_e32 v45, 0x3dbcf732, v31
	v_add_f32_e32 v42, v42, v46
	v_add_f32_e32 v43, v43, v47
	v_mov_b32_e32 v46, v44
	v_fma_f32 v44, v32, s16, -v44
	;; [unrolled: 12-line block ×4, first 2 shown]
	v_mov_b32_e32 v55, v54
	v_add_f32_e32 v52, v52, v56
	v_fmac_f32_e32 v55, 0x3e3c28d5, v24
	v_mul_f32_e32 v56, 0xbe3c28d5, v23
	v_mul_f32_e32 v23, 0x3f65296c, v23
	v_add_f32_e32 v55, v55, v59
	v_mov_b32_e32 v59, v23
	v_fma_f32 v23, v32, s10, -v23
	v_fmac_f32_e32 v54, 0xbe3c28d5, v24
	v_mul_f32_e32 v31, 0x3ee437d1, v31
	v_add_f32_e32 v23, v23, v27
	v_add_f32_e32 v27, v19, v21
	;; [unrolled: 1-line block ×3, first 2 shown]
	v_mov_b32_e32 v58, v31
	v_fmac_f32_e32 v31, 0x3f65296c, v24
	v_sub_f32_e32 v19, v19, v21
	v_mul_f32_e32 v21, 0xbf59a7d5, v27
	v_fmac_f32_e32 v58, 0xbf65296c, v24
	v_add_f32_e32 v24, v31, v28
	v_add_f32_e32 v28, v20, v22
	v_sub_f32_e32 v20, v20, v22
	v_mov_b32_e32 v22, v21
	v_fmac_f32_e32 v22, 0x3f06c442, v20
	v_fmac_f32_e32 v53, 0x3f3d2fb0, v32
	v_add_f32_e32 v22, v22, v26
	v_mul_f32_e32 v26, 0xbf06c442, v19
	v_fmac_f32_e32 v21, 0xbf06c442, v20
	v_add_f32_e32 v53, v53, v57
	v_mov_b32_e32 v57, v56
	v_mov_b32_e32 v31, v26
	v_add_f32_e32 v21, v21, v25
	v_fma_f32 v25, v28, s16, -v26
	v_mul_f32_e32 v26, 0x3ee437d1, v27
	v_fmac_f32_e32 v57, 0xbf7ba420, v32
	v_fma_f32 v56, v32, s17, -v56
	v_fmac_f32_e32 v59, 0x3ee437d1, v32
	v_fmac_f32_e32 v31, 0xbf59a7d5, v28
	v_add_f32_e32 v25, v25, v29
	v_mov_b32_e32 v29, v26
	v_mul_f32_e32 v32, 0x3f65296c, v19
	v_fmac_f32_e32 v26, 0x3f65296c, v20
	v_add_f32_e32 v31, v31, v33
	v_fmac_f32_e32 v29, 0xbf65296c, v20
	v_mov_b32_e32 v33, v32
	v_add_f32_e32 v26, v26, v30
	v_fma_f32 v30, v28, s10, -v32
	v_mul_f32_e32 v32, 0x3dbcf732, v27
	v_add_f32_e32 v29, v29, v34
	v_mov_b32_e32 v34, v32
	v_fmac_f32_e32 v32, 0xbf7ee86f, v20
	v_fmac_f32_e32 v34, 0x3f7ee86f, v20
	v_add_f32_e32 v32, v32, v36
	v_mul_f32_e32 v36, 0xbf1a4643, v27
	v_add_f32_e32 v34, v34, v38
	v_mov_b32_e32 v38, v36
	v_fmac_f32_e32 v36, 0x3f4c4adb, v20
	v_fmac_f32_e32 v33, 0x3ee437d1, v28
	v_add_f32_e32 v30, v30, v35
	v_mul_f32_e32 v35, 0xbf7ee86f, v19
	v_fmac_f32_e32 v38, 0xbf4c4adb, v20
	v_add_f32_e32 v36, v36, v41
	v_mul_f32_e32 v41, 0x3f6eb680, v27
	v_add_f32_e32 v72, v72, v76
	v_add_f32_e32 v33, v33, v37
	v_mov_b32_e32 v37, v35
	v_fma_f32 v35, v28, s11, -v35
	v_add_f32_e32 v38, v38, v43
	v_mov_b32_e32 v43, v41
	v_fmac_f32_e32 v41, 0xbeb8f4ab, v20
	v_add_f32_e32 v68, v68, v72
	v_fmac_f32_e32 v37, 0x3dbcf732, v28
	v_add_f32_e32 v35, v35, v39
	v_mul_f32_e32 v39, 0x3f4c4adb, v19
	v_fmac_f32_e32 v43, 0x3eb8f4ab, v20
	v_add_f32_e32 v41, v41, v45
	v_mul_f32_e32 v45, 0xbf7ba420, v27
	v_add_f32_e32 v64, v64, v68
	v_add_f32_e32 v37, v37, v42
	v_mov_b32_e32 v42, v39
	v_fma_f32 v39, v28, s13, -v39
	v_add_f32_e32 v43, v43, v47
	v_mov_b32_e32 v47, v45
	v_add_f32_e32 v60, v60, v64
	v_fmac_f32_e32 v42, 0xbf1a4643, v28
	v_add_f32_e32 v39, v39, v44
	v_mul_f32_e32 v44, 0xbeb8f4ab, v19
	v_fmac_f32_e32 v47, 0x3e3c28d5, v20
	v_add_f32_e32 v56, v56, v60
	v_add_f32_e32 v42, v42, v46
	v_mov_b32_e32 v46, v44
	v_fma_f32 v44, v28, s6, -v44
	v_add_f32_e32 v60, v47, v51
	v_mul_f32_e32 v47, 0xbe3c28d5, v19
	v_add_f32_e32 v44, v44, v48
	v_mov_b32_e32 v48, v47
	v_fma_f32 v47, v28, s17, -v47
	v_fmac_f32_e32 v48, 0xbf7ba420, v28
	v_add_f32_e32 v52, v47, v52
	v_mul_f32_e32 v47, 0x3f3d2fb0, v27
	v_add_f32_e32 v53, v48, v53
	v_mov_b32_e32 v48, v47
	v_add_f32_e32 v74, v74, v78
	v_fmac_f32_e32 v48, 0xbf2c7751, v20
	v_add_f32_e32 v70, v70, v74
	v_add_f32_e32 v55, v48, v55
	v_mul_f32_e32 v48, 0x3f2c7751, v19
	v_fmac_f32_e32 v47, 0x3f2c7751, v20
	v_add_f32_e32 v66, v66, v70
	v_add_f32_e32 v54, v47, v54
	v_fma_f32 v47, v28, s7, -v48
	v_mul_f32_e32 v27, 0xbe8c1d8e, v27
	v_add_f32_e32 v62, v62, v66
	v_add_f32_e32 v56, v47, v56
	v_mov_b32_e32 v47, v27
	v_add_f32_e32 v58, v58, v62
	v_fmac_f32_e32 v47, 0x3f763a35, v20
	v_mul_f32_e32 v19, 0xbf763a35, v19
	v_add_f32_e32 v58, v47, v58
	v_mov_b32_e32 v47, v19
	v_fma_f32 v19, v28, s12, -v19
	v_add_f32_e32 v19, v19, v23
	v_add_f32_e32 v23, v15, v17
	v_fmac_f32_e32 v27, 0xbf763a35, v20
	v_sub_f32_e32 v17, v15, v17
	v_mul_f32_e32 v15, 0xbf7ba420, v23
	v_fmac_f32_e32 v45, 0xbe3c28d5, v20
	v_add_f32_e32 v20, v27, v24
	v_add_f32_e32 v24, v16, v18
	v_sub_f32_e32 v18, v16, v18
	v_mov_b32_e32 v16, v15
	v_fmac_f32_e32 v16, 0x3e3c28d5, v18
	v_add_f32_e32 v22, v16, v22
	v_mul_f32_e32 v16, 0xbe3c28d5, v17
	v_fmac_f32_e32 v15, 0xbe3c28d5, v18
	v_mov_b32_e32 v27, v16
	v_add_f32_e32 v15, v15, v21
	v_fma_f32 v16, v24, s17, -v16
	v_mul_f32_e32 v21, 0x3f6eb680, v23
	v_add_f32_e32 v73, v73, v77
	v_add_f32_e32 v16, v16, v25
	v_mov_b32_e32 v25, v21
	v_add_f32_e32 v69, v69, v73
	v_fmac_f32_e32 v25, 0xbeb8f4ab, v18
	v_add_f32_e32 v65, v65, v69
	v_fmac_f32_e32 v27, 0xbf7ba420, v24
	v_add_f32_e32 v29, v25, v29
	v_mul_f32_e32 v25, 0x3eb8f4ab, v17
	v_add_f32_e32 v61, v61, v65
	v_add_f32_e32 v45, v45, v49
	v_mov_b32_e32 v49, v48
	v_add_f32_e32 v51, v27, v31
	v_mov_b32_e32 v27, v25
	v_fmac_f32_e32 v21, 0x3eb8f4ab, v18
	v_fma_f32 v25, v24, s6, -v25
	v_add_f32_e32 v57, v57, v61
	v_fmac_f32_e32 v49, 0x3f3d2fb0, v28
	v_fmac_f32_e32 v27, 0x3f6eb680, v24
	v_add_f32_e32 v21, v21, v26
	v_add_f32_e32 v26, v25, v30
	v_mul_f32_e32 v25, 0xbf59a7d5, v23
	v_add_f32_e32 v57, v49, v57
	v_add_f32_e32 v49, v27, v33
	v_mov_b32_e32 v27, v25
	v_fmac_f32_e32 v27, 0x3f06c442, v18
	v_add_f32_e32 v31, v27, v34
	v_mul_f32_e32 v27, 0xbf06c442, v17
	v_fmac_f32_e32 v25, 0xbf06c442, v18
	v_fmac_f32_e32 v46, 0x3f6eb680, v28
	;; [unrolled: 1-line block ×3, first 2 shown]
	v_mov_b32_e32 v28, v27
	v_add_f32_e32 v33, v25, v32
	v_fma_f32 v25, v24, s16, -v27
	v_fmac_f32_e32 v28, 0xbf59a7d5, v24
	v_add_f32_e32 v27, v25, v35
	v_mul_f32_e32 v25, 0x3f3d2fb0, v23
	v_add_f32_e32 v75, v75, v79
	v_add_f32_e32 v46, v46, v50
	v_add_f32_e32 v50, v28, v37
	v_mov_b32_e32 v28, v25
	v_add_f32_e32 v71, v71, v75
	v_fmac_f32_e32 v28, 0xbf2c7751, v18
	v_add_f32_e32 v67, v67, v71
	v_add_f32_e32 v34, v28, v38
	v_mul_f32_e32 v28, 0x3f2c7751, v17
	v_fmac_f32_e32 v25, 0x3f2c7751, v18
	v_add_f32_e32 v63, v63, v67
	v_mov_b32_e32 v30, v28
	v_add_f32_e32 v35, v25, v36
	v_fma_f32 v25, v24, s7, -v28
	v_add_f32_e32 v59, v59, v63
	v_fmac_f32_e32 v30, 0x3f3d2fb0, v24
	v_add_f32_e32 v28, v25, v39
	v_mul_f32_e32 v25, 0xbf1a4643, v23
	v_add_f32_e32 v59, v47, v59
	v_add_f32_e32 v47, v30, v42
	v_mov_b32_e32 v30, v25
	v_fmac_f32_e32 v30, 0x3f4c4adb, v18
	v_add_f32_e32 v36, v30, v43
	v_mul_f32_e32 v30, 0xbf4c4adb, v17
	v_fmac_f32_e32 v25, 0xbf4c4adb, v18
	v_mov_b32_e32 v32, v30
	v_add_f32_e32 v37, v25, v41
	v_fma_f32 v25, v24, s13, -v30
	v_fmac_f32_e32 v32, 0xbf1a4643, v24
	v_add_f32_e32 v30, v25, v44
	v_mul_f32_e32 v25, 0x3ee437d1, v23
	v_add_f32_e32 v48, v32, v46
	v_mov_b32_e32 v32, v25
	v_fmac_f32_e32 v32, 0xbf65296c, v18
	v_mul_f32_e32 v39, 0x3f65296c, v17
	v_add_f32_e32 v38, v32, v60
	v_mov_b32_e32 v32, v39
	v_fmac_f32_e32 v32, 0x3ee437d1, v24
	v_fmac_f32_e32 v25, 0x3f65296c, v18
	v_add_f32_e32 v32, v32, v53
	v_add_f32_e32 v53, v25, v45
	v_fma_f32 v25, v24, s10, -v39
	v_add_f32_e32 v41, v25, v52
	v_mul_f32_e32 v25, 0xbe8c1d8e, v23
	v_mov_b32_e32 v39, v25
	v_mul_f32_e32 v43, 0xbf763a35, v17
	v_fmac_f32_e32 v25, 0xbf763a35, v18
	v_add_f32_e32 v52, v25, v54
	v_fma_f32 v25, v24, s12, -v43
	v_mul_f32_e32 v23, 0x3dbcf732, v23
	v_mov_b32_e32 v42, v43
	v_add_f32_e32 v43, v25, v56
	v_mov_b32_e32 v25, v23
	v_fmac_f32_e32 v25, 0xbf7ee86f, v18
	v_mul_f32_e32 v17, 0x3f7ee86f, v17
	v_add_f32_e32 v54, v25, v58
	v_mov_b32_e32 v25, v17
	v_mul_u32_u24_e32 v0, 0x242, v0
	v_fmac_f32_e32 v25, 0x3dbcf732, v24
	v_add_f32_e32 v44, v25, v59
	v_fma_f32 v17, v24, s11, -v17
	v_lshlrev_b32_e32 v25, 2, v0
	v_fmac_f32_e32 v23, 0x3f7ee86f, v18
	v_add_f32_e32 v45, v17, v19
	v_add_u32_e32 v17, 0, v25
	s_movk_i32 s0, 0x44
	v_fmac_f32_e32 v39, 0x3f763a35, v18
	v_add_f32_e32 v18, v23, v20
	v_mad_u32_u24 v46, v1, s0, v17
	s_load_dwordx2 s[4:5], s[4:5], 0x0
	v_add_f32_e32 v39, v39, v55
	ds_write2_b32 v46, v6, v22 offset1:1
	ds_write2_b32 v46, v29, v31 offset0:2 offset1:3
	ds_write2_b32 v46, v34, v36 offset0:4 offset1:5
	;; [unrolled: 1-line block ×7, first 2 shown]
	ds_write_b32 v46, v15 offset:64
	v_lshlrev_b32_e32 v18, 2, v1
	v_add3_u32 v39, 0, v18, v25
	v_fmac_f32_e32 v42, 0xbe8c1d8e, v24
	v_add_u32_e32 v0, v17, v18
	v_lshl_add_u32 v38, v2, 2, v17
	v_add_u32_e32 v29, 0x400, v39
	v_add_u32_e32 v31, 0x600, v39
	v_add_f32_e32 v42, v42, v57
	s_waitcnt lgkmcnt(0)
	s_barrier
	v_lshl_add_u32 v6, v9, 2, v17
	v_lshl_add_u32 v15, v10, 2, v17
	;; [unrolled: 1-line block ×7, first 2 shown]
	ds_read_b32 v70, v0
	ds_read_b32 v54, v6
	;; [unrolled: 1-line block ×9, first 2 shown]
	ds_read2_b32 v[23:24], v29 offset0:50 offset1:84
	ds_read2_b32 v[21:22], v29 offset0:118 offset1:152
	;; [unrolled: 1-line block ×4, first 2 shown]
	s_waitcnt lgkmcnt(0)
	s_barrier
	ds_write2_b32 v46, v40, v51 offset1:1
	ds_write2_b32 v46, v49, v50 offset0:2 offset1:3
	ds_write2_b32 v46, v47, v48 offset0:4 offset1:5
	;; [unrolled: 1-line block ×7, first 2 shown]
	ds_write_b32 v46, v16 offset:64
	v_subrev_u32_e32 v16, 17, v1
	v_cmp_gt_u32_e64 s[0:1], 17, v1
	v_cndmask_b32_e64 v69, v16, v1, s[0:1]
	v_lshlrev_b32_e32 v26, 4, v69
	v_mov_b32_e32 v27, 0
	v_lshlrev_b64 v[26:27], 3, v[26:27]
	v_mov_b32_e32 v28, s9
	v_add_co_u32_e64 v26, s[2:3], s8, v26
	v_addc_co_u32_e64 v27, s[2:3], v28, v27, s[2:3]
	s_waitcnt lgkmcnt(0)
	s_barrier
	global_load_dwordx4 v[40:43], v[26:27], off
	global_load_dwordx4 v[44:47], v[26:27], off offset:16
	global_load_dwordx4 v[65:68], v[26:27], off offset:32
	;; [unrolled: 1-line block ×7, first 2 shown]
	ds_read_b32 v58, v0
	ds_read_b32 v26, v6
	;; [unrolled: 1-line block ×9, first 2 shown]
	ds_read2_b32 v[50:51], v29 offset0:50 offset1:84
	ds_read2_b32 v[91:92], v29 offset0:118 offset1:152
	;; [unrolled: 1-line block ×4, first 2 shown]
	v_cmp_lt_u32_e64 s[2:3], 16, v1
	v_lshlrev_b32_e32 v69, 2, v69
	s_waitcnt vmcnt(0) lgkmcnt(0)
	s_barrier
	v_mul_f32_e32 v64, v54, v41
	v_mul_f32_e32 v48, v26, v41
	v_fmac_f32_e32 v64, v26, v40
	v_mul_f32_e32 v26, v27, v43
	v_fma_f32 v59, v55, v42, -v26
	v_mul_f32_e32 v26, v28, v45
	v_fma_f32 v63, v54, v40, -v48
	;; [unrolled: 2-line block ×3, first 2 shown]
	v_mul_f32_e32 v55, v52, v45
	v_mul_f32_e32 v26, v30, v47
	v_fmac_f32_e32 v55, v28, v44
	v_fma_f32 v52, v53, v46, -v26
	v_mul_f32_e32 v53, v53, v47
	v_mul_f32_e32 v28, v50, v76
	v_fmac_f32_e32 v53, v30, v46
	v_mul_f32_e32 v26, v32, v66
	v_fma_f32 v28, v23, v75, -v28
	v_mul_f32_e32 v30, v23, v76
	v_mul_f32_e32 v23, v51, v78
	v_fmac_f32_e32 v60, v27, v42
	v_fma_f32 v48, v62, v65, -v26
	v_mul_f32_e32 v26, v97, v68
	v_fma_f32 v42, v24, v77, -v23
	v_mul_f32_e32 v23, v91, v80
	v_mul_f32_e32 v49, v62, v66
	v_fma_f32 v44, v61, v67, -v26
	v_mul_f32_e32 v26, v98, v72
	v_fma_f32 v46, v21, v79, -v23
	v_mul_f32_e32 v47, v21, v80
	v_mul_f32_e32 v21, v92, v82
	v_fmac_f32_e32 v49, v32, v65
	v_fma_f32 v32, v57, v71, -v26
	v_mul_f32_e32 v26, v99, v74
	v_fmac_f32_e32 v30, v50, v75
	v_fma_f32 v50, v22, v81, -v21
	v_mul_f32_e32 v21, v93, v84
	v_mul_f32_e32 v41, v57, v72
	v_fma_f32 v26, v56, v73, -v26
	v_mul_f32_e32 v27, v56, v74
	v_fma_f32 v56, v19, v83, -v21
	v_mul_f32_e32 v57, v19, v84
	v_mul_f32_e32 v19, v94, v86
	;; [unrolled: 1-line block ×3, first 2 shown]
	v_fma_f32 v61, v20, v85, -v19
	v_mul_f32_e32 v19, v95, v88
	v_mul_f32_e32 v68, v18, v90
	v_fma_f32 v65, v17, v87, -v19
	v_mul_f32_e32 v66, v17, v88
	v_mul_f32_e32 v17, v96, v90
	v_fmac_f32_e32 v68, v96, v89
	v_fmac_f32_e32 v45, v97, v67
	v_mul_f32_e32 v43, v24, v78
	v_fma_f32 v67, v18, v89, -v17
	v_sub_f32_e32 v19, v64, v68
	v_fmac_f32_e32 v41, v98, v71
	v_fmac_f32_e32 v27, v99, v73
	;; [unrolled: 1-line block ×3, first 2 shown]
	v_mul_f32_e32 v51, v22, v82
	v_mul_f32_e32 v62, v20, v86
	v_add_f32_e32 v18, v63, v67
	v_mul_f32_e32 v20, 0xbeb8f4ab, v19
	v_mul_f32_e32 v22, 0xbf2c7751, v19
	;; [unrolled: 1-line block ×8, first 2 shown]
	v_fmac_f32_e32 v47, v91, v79
	v_fmac_f32_e32 v66, v95, v87
	v_fma_f32 v21, v18, s6, -v20
	v_fmac_f32_e32 v20, 0x3f6eb680, v18
	v_fma_f32 v23, v18, s7, -v22
	;; [unrolled: 2-line block ×8, first 2 shown]
	v_fmac_f32_e32 v19, 0xbf7ba420, v18
	v_add_f32_e32 v17, v70, v63
	v_add_f32_e32 v21, v70, v21
	;; [unrolled: 1-line block ×17, first 2 shown]
	v_sub_f32_e32 v70, v60, v66
	v_add_f32_e32 v19, v59, v65
	v_mul_f32_e32 v80, 0xbf2c7751, v70
	v_fmac_f32_e32 v51, v92, v81
	v_fma_f32 v81, v19, s7, -v80
	v_fmac_f32_e32 v80, 0x3f3d2fb0, v19
	v_add_f32_e32 v20, v80, v20
	v_mul_f32_e32 v80, 0xbf7ee86f, v70
	v_add_f32_e32 v21, v81, v21
	v_fma_f32 v81, v19, s11, -v80
	v_fmac_f32_e32 v80, 0x3dbcf732, v19
	v_add_f32_e32 v22, v80, v22
	v_mul_f32_e32 v80, 0xbf4c4adb, v70
	v_add_f32_e32 v23, v81, v23
	;; [unrolled: 5-line block ×6, first 2 shown]
	v_fma_f32 v81, v19, s10, -v80
	v_fmac_f32_e32 v80, 0x3ee437d1, v19
	v_mul_f32_e32 v70, 0x3eb8f4ab, v70
	v_fmac_f32_e32 v62, v94, v85
	v_add_f32_e32 v77, v80, v77
	v_fma_f32 v80, v19, s6, -v70
	v_fmac_f32_e32 v70, 0x3f6eb680, v19
	v_add_f32_e32 v18, v70, v18
	v_sub_f32_e32 v70, v55, v62
	v_add_f32_e32 v79, v80, v79
	v_add_f32_e32 v19, v54, v61
	v_mul_f32_e32 v80, 0xbf65296c, v70
	v_add_f32_e32 v78, v81, v78
	v_fma_f32 v81, v19, s10, -v80
	v_fmac_f32_e32 v80, 0x3ee437d1, v19
	v_add_f32_e32 v20, v80, v20
	v_mul_f32_e32 v80, 0xbf4c4adb, v70
	v_add_f32_e32 v21, v81, v21
	v_fma_f32 v81, v19, s13, -v80
	v_fmac_f32_e32 v80, 0xbf1a4643, v19
	;; [unrolled: 5-line block ×7, first 2 shown]
	v_mul_f32_e32 v70, 0xbf06c442, v70
	v_fmac_f32_e32 v57, v93, v83
	v_add_f32_e32 v77, v80, v77
	v_fma_f32 v80, v19, s16, -v70
	v_fmac_f32_e32 v70, 0xbf59a7d5, v19
	v_add_f32_e32 v18, v70, v18
	v_sub_f32_e32 v70, v53, v57
	v_add_f32_e32 v79, v80, v79
	v_add_f32_e32 v19, v52, v56
	v_mul_f32_e32 v80, 0xbf7ee86f, v70
	v_add_f32_e32 v78, v81, v78
	v_fma_f32 v81, v19, s11, -v80
	v_fmac_f32_e32 v80, 0x3dbcf732, v19
	v_add_f32_e32 v20, v80, v20
	v_mul_f32_e32 v80, 0xbe3c28d5, v70
	v_add_f32_e32 v21, v81, v21
	v_fma_f32 v81, v19, s17, -v80
	v_fmac_f32_e32 v80, 0xbf7ba420, v19
	v_add_f32_e32 v22, v80, v22
	v_mul_f32_e32 v80, 0x3f763a35, v70
	v_add_f32_e32 v23, v81, v23
	v_fma_f32 v81, v19, s12, -v80
	v_fmac_f32_e32 v80, 0xbe8c1d8e, v19
	v_add_f32_e32 v24, v80, v24
	v_mul_f32_e32 v80, 0x3eb8f4ab, v70
	v_add_f32_e32 v40, v81, v40
	v_fma_f32 v81, v19, s6, -v80
	v_fmac_f32_e32 v80, 0x3f6eb680, v19
	v_add_f32_e32 v71, v80, v71
	v_mul_f32_e32 v80, 0xbf65296c, v70
	v_add_f32_e32 v72, v81, v72
	v_fma_f32 v81, v19, s10, -v80
	v_fmac_f32_e32 v80, 0x3ee437d1, v19
	v_add_f32_e32 v73, v80, v73
	v_mul_f32_e32 v80, 0xbf06c442, v70
	v_add_f32_e32 v74, v81, v74
	v_fma_f32 v81, v19, s16, -v80
	v_fmac_f32_e32 v80, 0xbf59a7d5, v19
	v_add_f32_e32 v75, v80, v75
	v_mul_f32_e32 v80, 0x3f4c4adb, v70
	v_add_f32_e32 v76, v81, v76
	v_fma_f32 v81, v19, s13, -v80
	v_fmac_f32_e32 v80, 0xbf1a4643, v19
	v_mul_f32_e32 v70, 0x3f2c7751, v70
	v_add_f32_e32 v77, v80, v77
	v_fma_f32 v80, v19, s7, -v70
	v_fmac_f32_e32 v70, 0x3f3d2fb0, v19
	v_add_f32_e32 v18, v70, v18
	v_sub_f32_e32 v70, v49, v51
	v_add_f32_e32 v79, v80, v79
	v_add_f32_e32 v19, v48, v50
	v_mul_f32_e32 v80, 0xbf763a35, v70
	v_add_f32_e32 v78, v81, v78
	v_fma_f32 v81, v19, s12, -v80
	v_fmac_f32_e32 v80, 0xbe8c1d8e, v19
	v_add_f32_e32 v20, v80, v20
	v_mul_f32_e32 v80, 0x3f06c442, v70
	v_add_f32_e32 v21, v81, v21
	v_fma_f32 v81, v19, s16, -v80
	v_fmac_f32_e32 v80, 0xbf59a7d5, v19
	v_add_f32_e32 v22, v80, v22
	v_mul_f32_e32 v80, 0x3f2c7751, v70
	v_add_f32_e32 v23, v81, v23
	v_fma_f32 v81, v19, s7, -v80
	v_fmac_f32_e32 v80, 0x3f3d2fb0, v19
	v_add_f32_e32 v24, v80, v24
	v_mul_f32_e32 v80, 0xbf65296c, v70
	v_add_f32_e32 v40, v81, v40
	v_fma_f32 v81, v19, s10, -v80
	v_fmac_f32_e32 v80, 0x3ee437d1, v19
	v_add_f32_e32 v71, v80, v71
	v_mul_f32_e32 v80, 0xbe3c28d5, v70
	v_add_f32_e32 v72, v81, v72
	v_fma_f32 v81, v19, s17, -v80
	v_fmac_f32_e32 v80, 0xbf7ba420, v19
	v_add_f32_e32 v73, v80, v73
	v_mul_f32_e32 v80, 0x3f7ee86f, v70
	v_add_f32_e32 v74, v81, v74
	v_fma_f32 v81, v19, s11, -v80
	v_fmac_f32_e32 v80, 0x3dbcf732, v19
	v_add_f32_e32 v75, v80, v75
	v_mul_f32_e32 v80, 0xbeb8f4ab, v70
	v_add_f32_e32 v76, v81, v76
	v_fma_f32 v81, v19, s6, -v80
	v_fmac_f32_e32 v80, 0x3f6eb680, v19
	v_mul_f32_e32 v70, 0xbf4c4adb, v70
	;; [unrolled: 42-line block ×3, first 2 shown]
	v_add_f32_e32 v77, v80, v77
	v_fma_f32 v80, v19, s10, -v70
	v_fmac_f32_e32 v70, 0x3ee437d1, v19
	v_add_f32_e32 v18, v70, v18
	v_sub_f32_e32 v70, v41, v43
	v_add_f32_e32 v79, v80, v79
	v_add_f32_e32 v19, v32, v42
	v_mul_f32_e32 v80, 0xbf06c442, v70
	v_add_f32_e32 v78, v81, v78
	v_fma_f32 v81, v19, s16, -v80
	v_fmac_f32_e32 v80, 0xbf59a7d5, v19
	v_add_f32_e32 v20, v80, v20
	v_mul_f32_e32 v80, 0x3f65296c, v70
	v_add_f32_e32 v21, v81, v21
	v_fma_f32 v81, v19, s10, -v80
	v_fmac_f32_e32 v80, 0x3ee437d1, v19
	v_add_f32_e32 v22, v80, v22
	v_mul_f32_e32 v80, 0xbf7ee86f, v70
	v_add_f32_e32 v23, v81, v23
	v_fma_f32 v81, v19, s11, -v80
	v_add_f32_e32 v81, v81, v40
	v_fmac_f32_e32 v80, 0x3dbcf732, v19
	v_mul_f32_e32 v40, 0x3f4c4adb, v70
	v_add_f32_e32 v24, v80, v24
	v_fma_f32 v80, v19, s13, -v40
	v_fmac_f32_e32 v40, 0xbf1a4643, v19
	v_add_f32_e32 v71, v40, v71
	v_mul_f32_e32 v40, 0xbeb8f4ab, v70
	v_add_f32_e32 v72, v80, v72
	v_fma_f32 v80, v19, s6, -v40
	v_fmac_f32_e32 v40, 0x3f6eb680, v19
	v_add_f32_e32 v74, v80, v74
	v_add_f32_e32 v80, v40, v73
	v_mul_f32_e32 v40, 0xbe3c28d5, v70
	v_fma_f32 v73, v19, s17, -v40
	v_fmac_f32_e32 v40, 0xbf7ba420, v19
	v_add_f32_e32 v83, v40, v75
	v_mul_f32_e32 v40, 0x3f2c7751, v70
	v_add_f32_e32 v82, v73, v76
	v_fma_f32 v73, v19, s7, -v40
	v_fmac_f32_e32 v40, 0x3f3d2fb0, v19
	v_add_f32_e32 v84, v40, v77
	v_mul_f32_e32 v40, 0xbf763a35, v70
	v_fma_f32 v70, v19, s12, -v40
	v_fmac_f32_e32 v40, 0xbe8c1d8e, v19
	v_sub_f32_e32 v86, v27, v30
	v_add_f32_e32 v70, v70, v79
	v_add_f32_e32 v79, v40, v18
	;; [unrolled: 1-line block ×3, first 2 shown]
	v_mul_f32_e32 v18, 0xbe3c28d5, v86
	v_fma_f32 v19, v85, s17, -v18
	v_fmac_f32_e32 v18, 0xbf7ba420, v85
	v_add_f32_e32 v40, v18, v20
	v_mul_f32_e32 v18, 0x3eb8f4ab, v86
	v_add_f32_e32 v77, v19, v21
	v_fma_f32 v19, v85, s6, -v18
	v_add_f32_e32 v75, v19, v23
	v_mul_f32_e32 v19, 0xbf06c442, v86
	v_add_f32_e32 v17, v17, v59
	v_fma_f32 v20, v85, s16, -v19
	v_add_f32_e32 v17, v17, v54
	v_add_f32_e32 v76, v20, v81
	v_mul_f32_e32 v20, 0x3f2c7751, v86
	v_add_f32_e32 v17, v17, v52
	v_fma_f32 v21, v85, s7, -v20
	v_add_f32_e32 v17, v17, v48
	v_add_f32_e32 v78, v73, v78
	v_fmac_f32_e32 v18, 0x3f6eb680, v85
	v_add_f32_e32 v73, v21, v72
	v_mul_f32_e32 v21, 0xbf4c4adb, v86
	v_add_f32_e32 v17, v17, v44
	v_add_f32_e32 v18, v18, v22
	v_fma_f32 v22, v85, s13, -v21
	v_add_f32_e32 v17, v17, v32
	v_add_f32_e32 v74, v22, v74
	v_mul_f32_e32 v22, 0x3f65296c, v86
	v_add_f32_e32 v17, v17, v26
	v_fmac_f32_e32 v20, 0x3f3d2fb0, v85
	v_fma_f32 v23, v85, s10, -v22
	v_add_f32_e32 v17, v17, v28
	v_fmac_f32_e32 v19, 0xbf59a7d5, v85
	v_add_f32_e32 v20, v20, v71
	v_add_f32_e32 v71, v23, v82
	v_mul_f32_e32 v23, 0xbf763a35, v86
	v_add_f32_e32 v17, v17, v42
	v_add_f32_e32 v19, v19, v24
	v_fma_f32 v24, v85, s12, -v23
	v_add_f32_e32 v17, v17, v46
	v_add_f32_e32 v72, v24, v78
	v_mul_f32_e32 v78, 0x3f7ee86f, v86
	v_add_f32_e32 v17, v17, v50
	v_fma_f32 v24, v85, s11, -v78
	v_fmac_f32_e32 v78, 0x3dbcf732, v85
	v_add_f32_e32 v17, v17, v56
	v_add_f32_e32 v24, v24, v70
	v_add_f32_e32 v70, v78, v79
	v_mov_b32_e32 v78, 0x484
	v_add_f32_e32 v17, v17, v61
	v_cndmask_b32_e64 v78, 0, v78, s[2:3]
	v_add_f32_e32 v17, v17, v65
	v_fmac_f32_e32 v21, 0xbf1a4643, v85
	v_fmac_f32_e32 v22, 0x3ee437d1, v85
	;; [unrolled: 1-line block ×3, first 2 shown]
	v_add_u32_e32 v78, 0, v78
	v_add_f32_e32 v17, v17, v67
	v_add_f32_e32 v21, v21, v80
	v_add_f32_e32 v22, v22, v83
	v_add_f32_e32 v23, v23, v84
	v_add3_u32 v25, v78, v69, v25
	ds_write2_b32 v25, v17, v77 offset1:17
	ds_write2_b32 v25, v75, v76 offset0:34 offset1:51
	ds_write2_b32 v25, v73, v74 offset0:68 offset1:85
	;; [unrolled: 1-line block ×7, first 2 shown]
	ds_write_b32 v25, v40 offset:1088
	s_waitcnt lgkmcnt(0)
	s_barrier
	ds_read2_b32 v[17:18], v29 offset0:33 offset1:67
	ds_read2_b32 v[19:20], v29 offset0:101 offset1:135
	;; [unrolled: 1-line block ×4, first 2 shown]
	ds_read_b32 v70, v0
	ds_read_b32 v71, v6
	;; [unrolled: 1-line block ×8, first 2 shown]
                                        ; implicit-def: $vgpr69
	s_and_saveexec_b64 s[2:3], s[0:1]
	s_cbranch_execz .LBB0_14
; %bb.13:
	ds_read_b32 v40, v38
	ds_read_b32 v69, v39 offset:2244
.LBB0_14:
	s_or_b64 exec, exec, s[2:3]
	v_add_f32_e32 v78, v58, v64
	v_add_f32_e32 v78, v78, v60
	;; [unrolled: 1-line block ×14, first 2 shown]
	v_sub_f32_e32 v63, v63, v67
	v_add_f32_e32 v78, v78, v66
	v_mul_f32_e32 v67, 0xbeb8f4ab, v63
	v_mul_f32_e32 v79, 0xbf2c7751, v63
	;; [unrolled: 1-line block ×8, first 2 shown]
	v_add_f32_e32 v78, v78, v68
	v_add_f32_e32 v64, v64, v68
	v_mov_b32_e32 v68, v67
	v_mov_b32_e32 v80, v79
	;; [unrolled: 1-line block ×8, first 2 shown]
	v_fmac_f32_e32 v68, 0x3f6eb680, v64
	v_fma_f32 v67, v64, s6, -v67
	v_fmac_f32_e32 v80, 0x3f3d2fb0, v64
	v_fma_f32 v79, v64, s7, -v79
	;; [unrolled: 2-line block ×8, first 2 shown]
	v_sub_f32_e32 v59, v59, v65
	v_add_f32_e32 v68, v58, v68
	v_add_f32_e32 v67, v58, v67
	;; [unrolled: 1-line block ×17, first 2 shown]
	v_mul_f32_e32 v63, 0xbf2c7751, v59
	v_mov_b32_e32 v64, v63
	v_fma_f32 v63, v60, s7, -v63
	v_mul_f32_e32 v65, 0xbf7ee86f, v59
	v_fmac_f32_e32 v64, 0x3f3d2fb0, v60
	v_add_f32_e32 v63, v63, v67
	v_mov_b32_e32 v66, v65
	v_fma_f32 v65, v60, s11, -v65
	v_mul_f32_e32 v67, 0xbf4c4adb, v59
	v_add_f32_e32 v64, v64, v68
	v_fmac_f32_e32 v66, 0x3dbcf732, v60
	v_add_f32_e32 v65, v65, v79
	v_mov_b32_e32 v68, v67
	v_fma_f32 v67, v60, s13, -v67
	v_mul_f32_e32 v79, 0xbe3c28d5, v59
	v_add_f32_e32 v66, v66, v80
	;; [unrolled: 6-line block ×4, first 2 shown]
	v_add_f32_e32 v81, v81, v85
	v_mov_b32_e32 v84, v83
	v_fma_f32 v83, v60, s12, -v83
	v_mul_f32_e32 v85, 0x3f65296c, v59
	v_mul_f32_e32 v59, 0x3eb8f4ab, v59
	v_fmac_f32_e32 v82, 0xbf59a7d5, v60
	v_add_f32_e32 v83, v83, v87
	v_mov_b32_e32 v87, v59
	v_fma_f32 v59, v60, s6, -v59
	v_sub_f32_e32 v54, v54, v61
	v_add_f32_e32 v82, v82, v86
	v_mov_b32_e32 v86, v85
	v_add_f32_e32 v58, v59, v58
	v_add_f32_e32 v55, v55, v62
	v_mul_f32_e32 v59, 0xbf65296c, v54
	v_fmac_f32_e32 v84, 0xbe8c1d8e, v60
	v_fmac_f32_e32 v86, 0x3ee437d1, v60
	v_fma_f32 v85, v60, s10, -v85
	v_fmac_f32_e32 v87, 0x3f6eb680, v60
	v_mov_b32_e32 v60, v59
	v_fma_f32 v59, v55, s10, -v59
	v_mul_f32_e32 v61, 0xbf4c4adb, v54
	v_fmac_f32_e32 v60, 0x3ee437d1, v55
	v_add_f32_e32 v59, v59, v63
	v_mov_b32_e32 v62, v61
	v_fma_f32 v61, v55, s13, -v61
	v_mul_f32_e32 v63, 0x3e3c28d5, v54
	v_add_f32_e32 v60, v60, v64
	v_fmac_f32_e32 v62, 0xbf1a4643, v55
	v_add_f32_e32 v61, v61, v65
	v_mov_b32_e32 v64, v63
	v_fma_f32 v63, v55, s17, -v63
	v_mul_f32_e32 v65, 0x3f763a35, v54
	v_add_f32_e32 v62, v62, v66
	;; [unrolled: 6-line block ×4, first 2 shown]
	v_fmac_f32_e32 v68, 0x3f3d2fb0, v55
	v_add_f32_e32 v67, v67, v81
	v_mov_b32_e32 v80, v79
	v_fma_f32 v79, v55, s6, -v79
	v_mul_f32_e32 v81, 0xbf7ee86f, v54
	v_mul_f32_e32 v54, 0xbf06c442, v54
	v_add_f32_e32 v68, v68, v82
	v_add_f32_e32 v79, v79, v83
	v_mov_b32_e32 v82, v81
	v_mov_b32_e32 v83, v54
	v_sub_f32_e32 v52, v52, v56
	v_fmac_f32_e32 v80, 0x3f6eb680, v55
	v_fmac_f32_e32 v82, 0x3dbcf732, v55
	v_fma_f32 v81, v55, s11, -v81
	v_fmac_f32_e32 v83, 0xbf59a7d5, v55
	v_fma_f32 v54, v55, s16, -v54
	v_add_f32_e32 v53, v53, v57
	v_mul_f32_e32 v55, 0xbf7ee86f, v52
	v_mov_b32_e32 v56, v55
	v_fma_f32 v55, v53, s11, -v55
	v_mul_f32_e32 v57, 0xbe3c28d5, v52
	v_add_f32_e32 v54, v54, v58
	v_fmac_f32_e32 v56, 0x3dbcf732, v53
	v_add_f32_e32 v55, v55, v59
	v_mov_b32_e32 v58, v57
	v_fma_f32 v57, v53, s17, -v57
	v_mul_f32_e32 v59, 0x3f763a35, v52
	v_add_f32_e32 v56, v56, v60
	v_fmac_f32_e32 v58, 0xbf7ba420, v53
	v_add_f32_e32 v57, v57, v61
	;; [unrolled: 6-line block ×5, first 2 shown]
	v_mov_b32_e32 v66, v65
	v_fma_f32 v65, v53, s16, -v65
	v_mul_f32_e32 v67, 0x3f4c4adb, v52
	v_mul_f32_e32 v52, 0x3f2c7751, v52
	v_sub_f32_e32 v48, v48, v50
	v_add_f32_e32 v64, v64, v68
	v_add_f32_e32 v65, v65, v79
	v_mov_b32_e32 v68, v67
	v_mov_b32_e32 v79, v52
	v_add_f32_e32 v49, v49, v51
	v_mul_f32_e32 v50, 0xbf763a35, v48
	v_fmac_f32_e32 v66, 0xbf59a7d5, v53
	v_fmac_f32_e32 v68, 0xbf1a4643, v53
	v_fma_f32 v67, v53, s13, -v67
	v_fmac_f32_e32 v79, 0x3f3d2fb0, v53
	v_fma_f32 v52, v53, s7, -v52
	v_mov_b32_e32 v51, v50
	v_fma_f32 v50, v49, s12, -v50
	v_mul_f32_e32 v53, 0x3f06c442, v48
	v_add_f32_e32 v52, v52, v54
	v_fmac_f32_e32 v51, 0xbe8c1d8e, v49
	v_add_f32_e32 v50, v50, v55
	v_mov_b32_e32 v54, v53
	v_fma_f32 v53, v49, s16, -v53
	v_mul_f32_e32 v55, 0x3f2c7751, v48
	v_add_f32_e32 v51, v51, v56
	v_fmac_f32_e32 v54, 0xbf59a7d5, v49
	v_add_f32_e32 v53, v53, v57
	;; [unrolled: 6-line block ×4, first 2 shown]
	v_mov_b32_e32 v60, v59
	v_fma_f32 v59, v49, s17, -v59
	v_mul_f32_e32 v61, 0x3f7ee86f, v48
	v_sub_f32_e32 v44, v44, v46
	v_add_f32_e32 v58, v58, v62
	v_fmac_f32_e32 v60, 0xbf7ba420, v49
	v_add_f32_e32 v59, v59, v63
	v_mov_b32_e32 v62, v61
	v_fma_f32 v61, v49, s11, -v61
	v_mul_f32_e32 v63, 0xbeb8f4ab, v48
	v_mul_f32_e32 v48, 0xbf4c4adb, v48
	;; [unrolled: 1-line block ×3, first 2 shown]
	v_add_f32_e32 v60, v60, v64
	v_add_f32_e32 v61, v61, v65
	v_mov_b32_e32 v64, v63
	v_mov_b32_e32 v65, v48
	v_add_f32_e32 v45, v45, v47
	v_mov_b32_e32 v47, v46
	v_fmac_f32_e32 v62, 0x3dbcf732, v49
	v_fmac_f32_e32 v64, 0x3f6eb680, v49
	v_fma_f32 v63, v49, s6, -v63
	v_fmac_f32_e32 v65, 0xbf1a4643, v49
	v_fma_f32 v48, v49, s13, -v48
	;; [unrolled: 2-line block ×3, first 2 shown]
	v_mul_f32_e32 v49, 0x3f763a35, v44
	v_add_f32_e32 v47, v47, v51
	v_add_f32_e32 v46, v46, v50
	v_mov_b32_e32 v50, v49
	v_fma_f32 v49, v45, s12, -v49
	v_mul_f32_e32 v51, 0xbeb8f4ab, v44
	v_add_f32_e32 v48, v48, v52
	v_fmac_f32_e32 v50, 0xbe8c1d8e, v45
	v_add_f32_e32 v49, v49, v53
	v_mov_b32_e32 v52, v51
	v_fma_f32 v51, v45, s6, -v51
	v_mul_f32_e32 v53, 0xbf06c442, v44
	v_add_f32_e32 v50, v50, v54
	v_fmac_f32_e32 v52, 0x3f6eb680, v45
	;; [unrolled: 6-line block ×3, first 2 shown]
	v_add_f32_e32 v53, v53, v57
	v_mov_b32_e32 v56, v55
	v_fma_f32 v55, v45, s11, -v55
	v_mul_f32_e32 v57, 0xbf2c7751, v44
	v_sub_f32_e32 v32, v32, v42
	v_add_f32_e32 v54, v54, v58
	v_fmac_f32_e32 v56, 0x3dbcf732, v45
	v_add_f32_e32 v55, v55, v59
	v_mov_b32_e32 v58, v57
	v_fma_f32 v57, v45, s7, -v57
	v_mul_f32_e32 v59, 0xbe3c28d5, v44
	v_mul_f32_e32 v44, 0x3f65296c, v44
	;; [unrolled: 1-line block ×3, first 2 shown]
	v_add_f32_e32 v56, v56, v60
	v_add_f32_e32 v57, v57, v61
	v_mov_b32_e32 v60, v59
	v_mov_b32_e32 v61, v44
	v_add_f32_e32 v41, v41, v43
	v_mov_b32_e32 v43, v42
	v_fmac_f32_e32 v58, 0x3f3d2fb0, v45
	v_fmac_f32_e32 v60, 0xbf7ba420, v45
	v_fma_f32 v59, v45, s17, -v59
	v_fmac_f32_e32 v61, 0x3ee437d1, v45
	v_fma_f32 v44, v45, s10, -v44
	;; [unrolled: 2-line block ×3, first 2 shown]
	v_mul_f32_e32 v45, 0x3f65296c, v32
	v_add_f32_e32 v43, v43, v47
	v_add_f32_e32 v42, v42, v46
	v_mov_b32_e32 v46, v45
	v_fma_f32 v45, v41, s10, -v45
	v_mul_f32_e32 v47, 0xbf7ee86f, v32
	v_add_f32_e32 v44, v44, v48
	v_fmac_f32_e32 v46, 0x3ee437d1, v41
	v_add_f32_e32 v45, v45, v49
	v_mov_b32_e32 v48, v47
	v_fma_f32 v47, v41, s11, -v47
	v_mul_f32_e32 v49, 0x3f4c4adb, v32
	v_add_f32_e32 v46, v46, v50
	v_fmac_f32_e32 v48, 0x3dbcf732, v41
	v_add_f32_e32 v47, v47, v51
	v_mov_b32_e32 v50, v49
	v_fma_f32 v49, v41, s13, -v49
	v_mul_f32_e32 v51, 0xbeb8f4ab, v32
	v_add_f32_e32 v48, v48, v52
	v_fmac_f32_e32 v50, 0xbf1a4643, v41
	v_add_f32_e32 v49, v49, v53
	v_mov_b32_e32 v52, v51
	v_fma_f32 v51, v41, s6, -v51
	v_mul_f32_e32 v53, 0xbe3c28d5, v32
	v_sub_f32_e32 v26, v26, v28
	v_add_f32_e32 v50, v50, v54
	v_fmac_f32_e32 v52, 0x3f6eb680, v41
	v_add_f32_e32 v51, v51, v55
	v_mov_b32_e32 v54, v53
	v_fma_f32 v53, v41, s17, -v53
	v_mul_f32_e32 v55, 0x3f2c7751, v32
	v_mul_f32_e32 v32, 0xbf763a35, v32
	v_add_f32_e32 v27, v27, v30
	v_mul_f32_e32 v28, 0xbe3c28d5, v26
	v_add_f32_e32 v52, v52, v56
	v_add_f32_e32 v53, v53, v57
	v_mov_b32_e32 v56, v55
	v_mov_b32_e32 v57, v32
	;; [unrolled: 1-line block ×3, first 2 shown]
	v_fma_f32 v28, v27, s17, -v28
	v_fmac_f32_e32 v54, 0xbf7ba420, v41
	v_fmac_f32_e32 v56, 0x3f3d2fb0, v41
	v_fma_f32 v55, v41, s7, -v55
	v_fmac_f32_e32 v57, 0xbe8c1d8e, v41
	v_fma_f32 v32, v41, s12, -v32
	v_fmac_f32_e32 v30, 0xbf7ba420, v27
	v_add_f32_e32 v41, v28, v42
	v_mul_f32_e32 v28, 0x3eb8f4ab, v26
	v_add_f32_e32 v30, v30, v43
	v_mov_b32_e32 v42, v28
	v_fma_f32 v28, v27, s6, -v28
	v_mul_f32_e32 v43, 0xbf06c442, v26
	v_add_f32_e32 v84, v84, v88
	v_add_f32_e32 v86, v86, v90
	v_add_f32_e32 v85, v85, v89
	v_add_f32_e32 v87, v87, v91
	v_add_f32_e32 v32, v32, v44
	v_fmac_f32_e32 v42, 0x3f6eb680, v27
	v_add_f32_e32 v28, v28, v45
	v_mov_b32_e32 v44, v43
	v_fma_f32 v43, v27, s16, -v43
	v_mul_f32_e32 v45, 0x3f2c7751, v26
	v_add_f32_e32 v80, v80, v84
	v_add_f32_e32 v82, v82, v86
	v_add_f32_e32 v81, v81, v85
	v_add_f32_e32 v83, v83, v87
	v_add_f32_e32 v42, v42, v46
	v_fmac_f32_e32 v44, 0xbf59a7d5, v27
	;; [unrolled: 10-line block ×4, first 2 shown]
	v_add_f32_e32 v47, v47, v51
	v_mov_b32_e32 v50, v49
	v_fma_f32 v49, v27, s10, -v49
	v_mul_f32_e32 v51, 0xbf763a35, v26
	v_mul_f32_e32 v26, 0x3f7ee86f, v26
	v_add_f32_e32 v58, v58, v62
	v_add_f32_e32 v60, v60, v64
	v_add_f32_e32 v59, v59, v63
	v_add_f32_e32 v61, v61, v65
	v_add_f32_e32 v48, v48, v52
	v_add_f32_e32 v49, v49, v53
	v_mov_b32_e32 v52, v51
	v_mov_b32_e32 v53, v26
	v_fma_f32 v26, v27, s11, -v26
	v_add_f32_e32 v54, v54, v58
	v_add_f32_e32 v56, v56, v60
	;; [unrolled: 1-line block ×4, first 2 shown]
	v_fmac_f32_e32 v50, 0x3ee437d1, v27
	v_fmac_f32_e32 v52, 0xbe8c1d8e, v27
	v_fma_f32 v51, v27, s12, -v51
	v_fmac_f32_e32 v53, 0x3dbcf732, v27
	v_add_f32_e32 v26, v26, v32
	v_add_f32_e32 v50, v50, v54
	;; [unrolled: 1-line block ×5, first 2 shown]
	s_waitcnt lgkmcnt(0)
	s_barrier
	ds_write2_b32 v25, v78, v30 offset1:17
	ds_write2_b32 v25, v42, v44 offset0:34 offset1:51
	ds_write2_b32 v25, v46, v48 offset0:68 offset1:85
	;; [unrolled: 1-line block ×7, first 2 shown]
	ds_write_b32 v25, v41 offset:1088
	s_waitcnt lgkmcnt(0)
	s_barrier
	ds_read2_b32 v[25:26], v29 offset0:33 offset1:67
	ds_read2_b32 v[27:28], v29 offset0:101 offset1:135
	;; [unrolled: 1-line block ×4, first 2 shown]
	ds_read_b32 v42, v0
	ds_read_b32 v43, v6
	;; [unrolled: 1-line block ×8, first 2 shown]
                                        ; implicit-def: $vgpr0
	s_and_saveexec_b64 s[2:3], s[0:1]
	s_cbranch_execz .LBB0_16
; %bb.15:
	ds_read_b32 v41, v38
	ds_read_b32 v0, v39 offset:2244
	v_mov_b32_e32 v16, v2
.LBB0_16:
	s_or_b64 exec, exec, s[2:3]
	s_and_saveexec_b64 s[0:1], vcc
	s_cbranch_execz .LBB0_19
; %bb.17:
	v_mov_b32_e32 v6, 0
	v_lshlrev_b64 v[38:39], 3, v[5:6]
	v_mov_b32_e32 v15, v6
	v_mov_b32_e32 v5, s9
	v_add_co_u32_e32 v38, vcc, s8, v38
	v_lshlrev_b64 v[14:15], 3, v[14:15]
	v_addc_co_u32_e32 v39, vcc, v5, v39, vcc
	v_add_co_u32_e32 v45, vcc, s8, v14
	v_mov_b32_e32 v14, v6
	v_lshlrev_b64 v[13:14], 3, v[13:14]
	v_addc_co_u32_e32 v46, vcc, v5, v15, vcc
	v_add_co_u32_e32 v13, vcc, s8, v13
	v_addc_co_u32_e32 v14, vcc, v5, v14, vcc
	global_load_dwordx2 v[47:48], v[38:39], off offset:2176
	global_load_dwordx2 v[49:50], v[45:46], off offset:2176
	;; [unrolled: 1-line block ×3, first 2 shown]
	v_mov_b32_e32 v13, v6
	v_lshlrev_b64 v[12:13], 3, v[12:13]
	v_mov_b32_e32 v2, v6
	v_add_co_u32_e32 v12, vcc, s8, v12
	v_addc_co_u32_e32 v13, vcc, v5, v13, vcc
	global_load_dwordx2 v[13:14], v[12:13], off offset:2176
	v_mov_b32_e32 v12, v6
	v_lshlrev_b64 v[11:12], 3, v[11:12]
	v_lshlrev_b64 v[45:46], 3, v[1:2]
	v_add_co_u32_e32 v11, vcc, s8, v11
	v_addc_co_u32_e32 v12, vcc, v5, v12, vcc
	global_load_dwordx2 v[38:39], v[11:12], off offset:2176
	v_mov_b32_e32 v11, v6
	v_lshlrev_b64 v[10:11], 3, v[10:11]
	v_mul_lo_u32 v2, s5, v7
	v_add_co_u32_e32 v10, vcc, s8, v10
	v_addc_co_u32_e32 v11, vcc, v5, v11, vcc
	global_load_dwordx2 v[11:12], v[10:11], off offset:2176
	v_mov_b32_e32 v10, v6
	v_lshlrev_b64 v[9:10], 3, v[9:10]
	v_add_co_u32_e32 v9, vcc, s8, v9
	v_addc_co_u32_e32 v10, vcc, v5, v10, vcc
	global_load_dwordx2 v[9:10], v[9:10], off offset:2176
	v_add_co_u32_e32 v45, vcc, s8, v45
	v_addc_co_u32_e32 v46, vcc, v5, v46, vcc
	global_load_dwordx2 v[45:46], v[45:46], off offset:2176
	v_mul_lo_u32 v5, s4, v8
	v_mad_u64_u32 v[7:8], s[0:1], s4, v7, 0
	s_mov_b32 s1, 0xe2c4a689
	s_movk_i32 s0, 0x121
	v_add3_u32 v8, v8, v5, v2
	v_lshlrev_b64 v[7:8], 3, v[7:8]
	s_waitcnt vmcnt(7)
	v_mul_f32_e32 v2, v24, v48
	s_waitcnt lgkmcnt(8)
	v_mul_f32_e32 v5, v32, v48
	v_fmac_f32_e32 v2, v32, v47
	v_fma_f32 v5, v24, v47, -v5
	s_waitcnt vmcnt(6)
	v_mul_f32_e32 v24, v31, v50
	s_waitcnt vmcnt(5)
	v_mul_f32_e32 v32, v22, v52
	s_waitcnt lgkmcnt(0)
	v_sub_f32_e32 v48, v37, v2
	v_fma_f32 v2, v23, v49, -v24
	v_mul_f32_e32 v15, v23, v50
	v_mul_f32_e32 v50, v30, v52
	v_fmac_f32_e32 v32, v30, v51
	v_sub_f32_e32 v30, v76, v2
	s_waitcnt vmcnt(4)
	v_mul_f32_e32 v2, v29, v14
	v_fma_f32 v2, v21, v13, -v2
	v_mul_f32_e32 v52, v21, v14
	v_sub_f32_e32 v14, v74, v2
	v_fmac_f32_e32 v52, v29, v13
	v_sub_f32_e32 v47, v77, v5
	s_waitcnt vmcnt(3)
	v_mul_f32_e32 v2, v20, v39
	v_fmac_f32_e32 v2, v28, v38
	v_sub_f32_e32 v21, v33, v2
	v_mul_f32_e32 v2, v28, v39
	v_fma_f32 v2, v20, v38, -v2
	v_sub_f32_e32 v20, v73, v2
	v_fma_f32 v5, v22, v51, -v50
	v_fmac_f32_e32 v15, v31, v49
	s_waitcnt vmcnt(2)
	v_mul_f32_e32 v2, v19, v12
	v_fmac_f32_e32 v2, v27, v11
	v_sub_f32_e32 v13, v44, v2
	v_mul_f32_e32 v2, v27, v12
	v_fma_f32 v2, v19, v11, -v2
	v_sub_f32_e32 v12, v72, v2
	v_sub_f32_e32 v49, v75, v5
	;; [unrolled: 1-line block ×3, first 2 shown]
	s_waitcnt vmcnt(1)
	v_mul_f32_e32 v2, v18, v10
	v_fmac_f32_e32 v2, v26, v9
	v_sub_f32_e32 v11, v43, v2
	v_mul_f32_e32 v2, v26, v10
	v_fma_f32 v2, v18, v9, -v2
	v_sub_f32_e32 v10, v71, v2
	v_mul_hi_u32 v2, v1, s1
	s_waitcnt vmcnt(0)
	v_mul_f32_e32 v5, v17, v46
	v_fmac_f32_e32 v5, v25, v45
	v_sub_f32_e32 v26, v42, v5
	v_lshrrev_b32_e32 v2, 8, v2
	v_mul_u32_u24_e32 v2, 0x121, v2
	v_sub_u32_e32 v9, v1, v2
	v_mad_u64_u32 v[38:39], s[2:3], s20, v9, 0
	v_mul_f32_e32 v2, v25, v46
	v_fma_f32 v5, v17, v45, -v2
	v_mov_b32_e32 v2, v39
	v_mad_u64_u32 v[24:25], s[2:3], s21, v9, v[2:3]
	v_sub_f32_e32 v25, v70, v5
	v_mov_b32_e32 v2, s15
	v_add_co_u32_e32 v5, vcc, s14, v7
	v_addc_co_u32_e32 v7, vcc, v2, v8, vcc
	v_lshlrev_b64 v[2:3], 3, v[3:4]
	v_add_u32_e32 v9, 0x121, v9
	v_add_co_u32_e32 v2, vcc, v5, v2
	v_addc_co_u32_e32 v3, vcc, v7, v3, vcc
	v_mad_u64_u32 v[7:8], s[2:3], s20, v9, 0
	v_add_u32_e32 v17, 34, v1
	v_mov_b32_e32 v39, v24
	v_mul_hi_u32 v24, v17, s1
	v_mad_u64_u32 v[8:9], s[2:3], s21, v9, v[8:9]
	s_movk_i32 s2, 0x242
	v_lshrrev_b32_e32 v9, 8, v24
	v_mul_u32_u24_e32 v24, 0x121, v9
	v_sub_u32_e32 v17, v17, v24
	v_mad_u32_u24 v9, v9, s2, v17
	v_lshlrev_b64 v[4:5], 3, v[38:39]
	v_mad_u64_u32 v[38:39], s[4:5], s20, v9, 0
	v_add_co_u32_e32 v4, vcc, v2, v4
	v_fma_f32 v19, v43, 2.0, -v11
	v_fma_f32 v43, v42, 2.0, -v26
	;; [unrolled: 1-line block ×3, first 2 shown]
	v_addc_co_u32_e32 v5, vcc, v3, v5, vcc
	global_store_dwordx2 v[4:5], v[42:43], off
	v_lshlrev_b64 v[4:5], 3, v[7:8]
	v_mov_b32_e32 v7, v39
	v_mad_u64_u32 v[7:8], s[4:5], s21, v9, v[7:8]
	v_add_u32_e32 v9, 0x121, v9
	v_add_u32_e32 v17, 0x44, v1
	v_mov_b32_e32 v39, v7
	v_mad_u64_u32 v[7:8], s[4:5], s20, v9, 0
	v_mul_hi_u32 v24, v17, s1
	v_add_co_u32_e32 v4, vcc, v2, v4
	v_mad_u64_u32 v[8:9], s[4:5], s21, v9, v[8:9]
	v_lshrrev_b32_e32 v9, 8, v24
	v_mul_u32_u24_e32 v24, 0x121, v9
	v_sub_u32_e32 v17, v17, v24
	v_addc_co_u32_e32 v5, vcc, v3, v5, vcc
	v_mad_u32_u24 v9, v9, s2, v17
	global_store_dwordx2 v[4:5], v[25:26], off
	v_lshlrev_b64 v[4:5], 3, v[38:39]
	v_mad_u64_u32 v[24:25], s[4:5], s20, v9, 0
	v_add_co_u32_e32 v4, vcc, v2, v4
	v_fma_f32 v18, v71, 2.0, -v10
	v_addc_co_u32_e32 v5, vcc, v3, v5, vcc
	global_store_dwordx2 v[4:5], v[18:19], off
	v_lshlrev_b64 v[4:5], 3, v[7:8]
	v_mov_b32_e32 v7, v25
	v_mad_u64_u32 v[7:8], s[4:5], s21, v9, v[7:8]
	v_add_co_u32_e32 v4, vcc, v2, v4
	v_addc_co_u32_e32 v5, vcc, v3, v5, vcc
	v_add_u32_e32 v9, 0x121, v9
	global_store_dwordx2 v[4:5], v[10:11], off
	v_mov_b32_e32 v25, v7
	v_mad_u64_u32 v[7:8], s[4:5], s20, v9, 0
	v_add_u32_e32 v10, 0x66, v1
	v_mul_hi_u32 v11, v10, s1
	v_mad_u64_u32 v[8:9], s[4:5], s21, v9, v[8:9]
	v_lshlrev_b64 v[4:5], 3, v[24:25]
	v_lshrrev_b32_e32 v9, 8, v11
	v_mul_u32_u24_e32 v11, 0x121, v9
	v_sub_u32_e32 v10, v10, v11
	v_mad_u32_u24 v11, v9, s2, v10
	v_mad_u64_u32 v[9:10], s[4:5], s20, v11, 0
	v_add_co_u32_e32 v4, vcc, v2, v4
	v_fma_f32 v29, v33, 2.0, -v21
	v_fma_f32 v33, v44, 2.0, -v13
	;; [unrolled: 1-line block ×3, first 2 shown]
	v_addc_co_u32_e32 v5, vcc, v3, v5, vcc
	global_store_dwordx2 v[4:5], v[32:33], off
	v_lshlrev_b64 v[4:5], 3, v[7:8]
	v_mov_b32_e32 v7, v10
	v_mad_u64_u32 v[7:8], s[4:5], s21, v11, v[7:8]
	v_add_co_u32_e32 v4, vcc, v2, v4
	v_addc_co_u32_e32 v5, vcc, v3, v5, vcc
	v_mov_b32_e32 v10, v7
	global_store_dwordx2 v[4:5], v[12:13], off
	v_lshlrev_b64 v[4:5], 3, v[9:10]
	v_add_u32_e32 v9, 0x121, v11
	v_mad_u64_u32 v[7:8], s[4:5], s20, v9, 0
	v_add_u32_e32 v10, 0x88, v1
	v_mul_hi_u32 v11, v10, s1
	v_mad_u64_u32 v[8:9], s[4:5], s21, v9, v[8:9]
	v_add_co_u32_e32 v4, vcc, v2, v4
	v_lshrrev_b32_e32 v9, 8, v11
	v_mul_u32_u24_e32 v11, 0x121, v9
	v_sub_u32_e32 v10, v10, v11
	v_mad_u32_u24 v11, v9, s2, v10
	v_mad_u64_u32 v[9:10], s[4:5], s20, v11, 0
	v_fma_f32 v28, v73, 2.0, -v20
	v_addc_co_u32_e32 v5, vcc, v3, v5, vcc
	global_store_dwordx2 v[4:5], v[28:29], off
	v_lshlrev_b64 v[4:5], 3, v[7:8]
	v_mov_b32_e32 v7, v10
	v_mad_u64_u32 v[7:8], s[4:5], s21, v11, v[7:8]
	v_add_co_u32_e32 v4, vcc, v2, v4
	v_addc_co_u32_e32 v5, vcc, v3, v5, vcc
	v_mov_b32_e32 v10, v7
	global_store_dwordx2 v[4:5], v[20:21], off
	v_lshlrev_b64 v[4:5], 3, v[9:10]
	v_add_u32_e32 v9, 0x121, v11
	v_mad_u64_u32 v[7:8], s[4:5], s20, v9, 0
	v_add_u32_e32 v10, 0xaa, v1
	v_mul_hi_u32 v11, v10, s1
	v_mad_u64_u32 v[8:9], s[4:5], s21, v9, v[8:9]
	v_sub_f32_e32 v31, v36, v15
	v_lshrrev_b32_e32 v9, 8, v11
	v_mul_u32_u24_e32 v11, 0x121, v9
	v_sub_u32_e32 v10, v10, v11
	v_mad_u32_u24 v11, v9, s2, v10
	v_mad_u64_u32 v[9:10], s[4:5], s20, v11, 0
	v_sub_f32_e32 v15, v34, v52
	v_add_co_u32_e32 v4, vcc, v2, v4
	v_fma_f32 v52, v35, 2.0, -v50
	v_fma_f32 v35, v34, 2.0, -v15
	;; [unrolled: 1-line block ×3, first 2 shown]
	v_addc_co_u32_e32 v5, vcc, v3, v5, vcc
	global_store_dwordx2 v[4:5], v[34:35], off
	v_lshlrev_b64 v[4:5], 3, v[7:8]
	v_mov_b32_e32 v7, v10
	v_mad_u64_u32 v[7:8], s[4:5], s21, v11, v[7:8]
	v_add_co_u32_e32 v4, vcc, v2, v4
	v_addc_co_u32_e32 v5, vcc, v3, v5, vcc
	v_mov_b32_e32 v10, v7
	global_store_dwordx2 v[4:5], v[14:15], off
	v_lshlrev_b64 v[4:5], 3, v[9:10]
	v_add_u32_e32 v9, 0x121, v11
	v_mad_u64_u32 v[7:8], s[4:5], s20, v9, 0
	v_add_u32_e32 v10, 0xcc, v1
	v_mul_hi_u32 v11, v10, s1
	v_mad_u64_u32 v[8:9], s[4:5], s21, v9, v[8:9]
	v_add_co_u32_e32 v4, vcc, v2, v4
	v_lshrrev_b32_e32 v9, 8, v11
	v_mul_u32_u24_e32 v11, 0x121, v9
	v_sub_u32_e32 v10, v10, v11
	v_mad_u32_u24 v11, v9, s2, v10
	v_mad_u64_u32 v[9:10], s[4:5], s20, v11, 0
	v_fma_f32 v51, v75, 2.0, -v49
	v_addc_co_u32_e32 v5, vcc, v3, v5, vcc
	global_store_dwordx2 v[4:5], v[51:52], off
	v_lshlrev_b64 v[4:5], 3, v[7:8]
	v_mov_b32_e32 v7, v10
	v_mad_u64_u32 v[7:8], s[4:5], s21, v11, v[7:8]
	v_add_co_u32_e32 v4, vcc, v2, v4
	v_addc_co_u32_e32 v5, vcc, v3, v5, vcc
	v_mov_b32_e32 v10, v7
	global_store_dwordx2 v[4:5], v[49:50], off
	v_lshlrev_b64 v[4:5], 3, v[9:10]
	v_add_u32_e32 v9, 0x121, v11
	v_mad_u64_u32 v[7:8], s[4:5], s20, v9, 0
	v_add_co_u32_e32 v4, vcc, v2, v4
	v_mad_u64_u32 v[8:9], s[4:5], s21, v9, v[8:9]
	v_add_u32_e32 v9, 0xee, v1
	v_mul_hi_u32 v10, v9, s1
	v_fma_f32 v23, v37, 2.0, -v48
	v_fma_f32 v37, v36, 2.0, -v31
	v_fma_f32 v36, v76, 2.0, -v30
	v_addc_co_u32_e32 v5, vcc, v3, v5, vcc
	global_store_dwordx2 v[4:5], v[36:37], off
	v_lshlrev_b64 v[4:5], 3, v[7:8]
	v_lshrrev_b32_e32 v7, 8, v10
	v_mul_u32_u24_e32 v8, 0x121, v7
	v_sub_u32_e32 v8, v9, v8
	v_mad_u32_u24 v10, v7, s2, v8
	v_mad_u64_u32 v[7:8], s[2:3], s20, v10, 0
	v_add_u32_e32 v11, 0x121, v10
	v_add_co_u32_e32 v4, vcc, v2, v4
	v_mad_u64_u32 v[8:9], s[2:3], s21, v10, v[8:9]
	v_mad_u64_u32 v[9:10], s[2:3], s20, v11, 0
	v_addc_co_u32_e32 v5, vcc, v3, v5, vcc
	global_store_dwordx2 v[4:5], v[30:31], off
	v_lshlrev_b64 v[4:5], 3, v[7:8]
	v_mov_b32_e32 v7, v10
	v_mad_u64_u32 v[7:8], s[2:3], s21, v11, v[7:8]
	v_add_co_u32_e32 v4, vcc, v2, v4
	v_fma_f32 v22, v77, 2.0, -v47
	v_addc_co_u32_e32 v5, vcc, v3, v5, vcc
	v_mov_b32_e32 v10, v7
	global_store_dwordx2 v[4:5], v[22:23], off
	v_lshlrev_b64 v[4:5], 3, v[9:10]
	v_add_co_u32_e32 v4, vcc, v2, v4
	v_addc_co_u32_e32 v5, vcc, v3, v5, vcc
	global_store_dwordx2 v[4:5], v[47:48], off
	v_add_u32_e32 v4, 0x110, v1
	v_cmp_gt_u32_e32 vcc, s0, v4
	s_and_b64 exec, exec, vcc
	s_cbranch_execz .LBB0_19
; %bb.18:
	v_mov_b32_e32 v17, v6
	v_lshlrev_b64 v[5:6], 3, v[16:17]
	v_mov_b32_e32 v7, s9
	v_add_co_u32_e32 v5, vcc, s8, v5
	v_addc_co_u32_e32 v6, vcc, v7, v6, vcc
	global_load_dwordx2 v[5:6], v[5:6], off offset:2176
	v_mad_u64_u32 v[7:8], s[0:1], s20, v4, 0
	v_add_u32_e32 v13, 0x231, v1
	v_mad_u64_u32 v[9:10], s[0:1], s20, v13, 0
	v_mov_b32_e32 v1, v8
	v_mad_u64_u32 v[11:12], s[0:1], s21, v4, v[1:2]
	v_mov_b32_e32 v1, v10
	;; [unrolled: 2-line block ×3, first 2 shown]
	v_lshlrev_b64 v[7:8], 3, v[7:8]
	v_mov_b32_e32 v10, v12
	v_lshlrev_b64 v[9:10], 3, v[9:10]
	v_add_co_u32_e32 v7, vcc, v2, v7
	v_addc_co_u32_e32 v8, vcc, v3, v8, vcc
	v_add_co_u32_e32 v1, vcc, v2, v9
	v_addc_co_u32_e32 v2, vcc, v3, v10, vcc
	s_waitcnt vmcnt(0)
	v_mul_f32_e32 v3, v0, v6
	v_mul_f32_e32 v4, v69, v6
	v_fma_f32 v3, v69, v5, -v3
	v_fmac_f32_e32 v4, v0, v5
	v_sub_f32_e32 v3, v40, v3
	v_sub_f32_e32 v4, v41, v4
	v_fma_f32 v5, v40, 2.0, -v3
	v_fma_f32 v6, v41, 2.0, -v4
	global_store_dwordx2 v[7:8], v[5:6], off
	global_store_dwordx2 v[1:2], v[3:4], off
.LBB0_19:
	s_endpgm
	.section	.rodata,"a",@progbits
	.p2align	6, 0x0
	.amdhsa_kernel fft_rtc_fwd_len578_factors_17_17_2_wgs_238_tpt_34_halfLds_sp_op_CI_CI_sbrr_dirReg
		.amdhsa_group_segment_fixed_size 0
		.amdhsa_private_segment_fixed_size 0
		.amdhsa_kernarg_size 104
		.amdhsa_user_sgpr_count 6
		.amdhsa_user_sgpr_private_segment_buffer 1
		.amdhsa_user_sgpr_dispatch_ptr 0
		.amdhsa_user_sgpr_queue_ptr 0
		.amdhsa_user_sgpr_kernarg_segment_ptr 1
		.amdhsa_user_sgpr_dispatch_id 0
		.amdhsa_user_sgpr_flat_scratch_init 0
		.amdhsa_user_sgpr_private_segment_size 0
		.amdhsa_uses_dynamic_stack 0
		.amdhsa_system_sgpr_private_segment_wavefront_offset 0
		.amdhsa_system_sgpr_workgroup_id_x 1
		.amdhsa_system_sgpr_workgroup_id_y 0
		.amdhsa_system_sgpr_workgroup_id_z 0
		.amdhsa_system_sgpr_workgroup_info 0
		.amdhsa_system_vgpr_workitem_id 0
		.amdhsa_next_free_vgpr 100
		.amdhsa_next_free_sgpr 32
		.amdhsa_reserve_vcc 1
		.amdhsa_reserve_flat_scratch 0
		.amdhsa_float_round_mode_32 0
		.amdhsa_float_round_mode_16_64 0
		.amdhsa_float_denorm_mode_32 3
		.amdhsa_float_denorm_mode_16_64 3
		.amdhsa_dx10_clamp 1
		.amdhsa_ieee_mode 1
		.amdhsa_fp16_overflow 0
		.amdhsa_exception_fp_ieee_invalid_op 0
		.amdhsa_exception_fp_denorm_src 0
		.amdhsa_exception_fp_ieee_div_zero 0
		.amdhsa_exception_fp_ieee_overflow 0
		.amdhsa_exception_fp_ieee_underflow 0
		.amdhsa_exception_fp_ieee_inexact 0
		.amdhsa_exception_int_div_zero 0
	.end_amdhsa_kernel
	.text
.Lfunc_end0:
	.size	fft_rtc_fwd_len578_factors_17_17_2_wgs_238_tpt_34_halfLds_sp_op_CI_CI_sbrr_dirReg, .Lfunc_end0-fft_rtc_fwd_len578_factors_17_17_2_wgs_238_tpt_34_halfLds_sp_op_CI_CI_sbrr_dirReg
                                        ; -- End function
	.section	.AMDGPU.csdata,"",@progbits
; Kernel info:
; codeLenInByte = 15488
; NumSgprs: 36
; NumVgprs: 100
; ScratchSize: 0
; MemoryBound: 0
; FloatMode: 240
; IeeeMode: 1
; LDSByteSize: 0 bytes/workgroup (compile time only)
; SGPRBlocks: 4
; VGPRBlocks: 24
; NumSGPRsForWavesPerEU: 36
; NumVGPRsForWavesPerEU: 100
; Occupancy: 2
; WaveLimiterHint : 1
; COMPUTE_PGM_RSRC2:SCRATCH_EN: 0
; COMPUTE_PGM_RSRC2:USER_SGPR: 6
; COMPUTE_PGM_RSRC2:TRAP_HANDLER: 0
; COMPUTE_PGM_RSRC2:TGID_X_EN: 1
; COMPUTE_PGM_RSRC2:TGID_Y_EN: 0
; COMPUTE_PGM_RSRC2:TGID_Z_EN: 0
; COMPUTE_PGM_RSRC2:TIDIG_COMP_CNT: 0
	.type	__hip_cuid_5b78863beccf7972,@object ; @__hip_cuid_5b78863beccf7972
	.section	.bss,"aw",@nobits
	.globl	__hip_cuid_5b78863beccf7972
__hip_cuid_5b78863beccf7972:
	.byte	0                               ; 0x0
	.size	__hip_cuid_5b78863beccf7972, 1

	.ident	"AMD clang version 19.0.0git (https://github.com/RadeonOpenCompute/llvm-project roc-6.4.0 25133 c7fe45cf4b819c5991fe208aaa96edf142730f1d)"
	.section	".note.GNU-stack","",@progbits
	.addrsig
	.addrsig_sym __hip_cuid_5b78863beccf7972
	.amdgpu_metadata
---
amdhsa.kernels:
  - .args:
      - .actual_access:  read_only
        .address_space:  global
        .offset:         0
        .size:           8
        .value_kind:     global_buffer
      - .offset:         8
        .size:           8
        .value_kind:     by_value
      - .actual_access:  read_only
        .address_space:  global
        .offset:         16
        .size:           8
        .value_kind:     global_buffer
      - .actual_access:  read_only
        .address_space:  global
        .offset:         24
        .size:           8
        .value_kind:     global_buffer
      - .actual_access:  read_only
        .address_space:  global
        .offset:         32
        .size:           8
        .value_kind:     global_buffer
      - .offset:         40
        .size:           8
        .value_kind:     by_value
      - .actual_access:  read_only
        .address_space:  global
        .offset:         48
        .size:           8
        .value_kind:     global_buffer
      - .actual_access:  read_only
        .address_space:  global
        .offset:         56
        .size:           8
        .value_kind:     global_buffer
      - .offset:         64
        .size:           4
        .value_kind:     by_value
      - .actual_access:  read_only
        .address_space:  global
        .offset:         72
        .size:           8
        .value_kind:     global_buffer
      - .actual_access:  read_only
        .address_space:  global
        .offset:         80
        .size:           8
        .value_kind:     global_buffer
      - .actual_access:  read_only
        .address_space:  global
        .offset:         88
        .size:           8
        .value_kind:     global_buffer
      - .actual_access:  write_only
        .address_space:  global
        .offset:         96
        .size:           8
        .value_kind:     global_buffer
    .group_segment_fixed_size: 0
    .kernarg_segment_align: 8
    .kernarg_segment_size: 104
    .language:       OpenCL C
    .language_version:
      - 2
      - 0
    .max_flat_workgroup_size: 238
    .name:           fft_rtc_fwd_len578_factors_17_17_2_wgs_238_tpt_34_halfLds_sp_op_CI_CI_sbrr_dirReg
    .private_segment_fixed_size: 0
    .sgpr_count:     36
    .sgpr_spill_count: 0
    .symbol:         fft_rtc_fwd_len578_factors_17_17_2_wgs_238_tpt_34_halfLds_sp_op_CI_CI_sbrr_dirReg.kd
    .uniform_work_group_size: 1
    .uses_dynamic_stack: false
    .vgpr_count:     100
    .vgpr_spill_count: 0
    .wavefront_size: 64
amdhsa.target:   amdgcn-amd-amdhsa--gfx906
amdhsa.version:
  - 1
  - 2
...

	.end_amdgpu_metadata
